;; amdgpu-corpus repo=ROCm/rocFFT kind=compiled arch=gfx906 opt=O3
	.text
	.amdgcn_target "amdgcn-amd-amdhsa--gfx906"
	.amdhsa_code_object_version 6
	.protected	bluestein_single_fwd_len490_dim1_half_op_CI_CI ; -- Begin function bluestein_single_fwd_len490_dim1_half_op_CI_CI
	.globl	bluestein_single_fwd_len490_dim1_half_op_CI_CI
	.p2align	8
	.type	bluestein_single_fwd_len490_dim1_half_op_CI_CI,@function
bluestein_single_fwd_len490_dim1_half_op_CI_CI: ; @bluestein_single_fwd_len490_dim1_half_op_CI_CI
; %bb.0:
	v_mul_u32_u24_e32 v1, 0x3a9, v0
	s_load_dwordx4 s[0:3], s[4:5], 0x28
	v_lshrrev_b32_e32 v1, 16, v1
	v_mad_u64_u32 v[8:9], s[6:7], s6, 3, v[1:2]
	v_mov_b32_e32 v9, 0
	s_waitcnt lgkmcnt(0)
	v_cmp_gt_u64_e32 vcc, s[0:1], v[8:9]
	s_and_saveexec_b64 s[0:1], vcc
	s_cbranch_execz .LBB0_15
; %bb.1:
	s_mov_b32 s0, 0xaaaaaaab
	v_mul_hi_u32 v2, v8, s0
	v_mul_lo_u16_e32 v1, 0x46, v1
	s_load_dwordx2 s[6:7], s[4:5], 0x0
	s_load_dwordx2 s[12:13], s[4:5], 0x38
	v_sub_u16_e32 v24, v0, v1
	v_lshrrev_b32_e32 v0, 1, v2
	v_lshl_add_u32 v0, v0, 1, v0
	v_sub_u32_e32 v0, v8, v0
	v_mul_u32_u24_e32 v11, 0x1ea, v0
	v_cmp_gt_u16_e32 vcc, 49, v24
	v_lshlrev_b32_e32 v23, 2, v24
	v_lshlrev_b32_e32 v26, 2, v11
	s_and_saveexec_b64 s[8:9], vcc
	s_cbranch_execz .LBB0_3
; %bb.2:
	s_load_dwordx2 s[0:1], s[4:5], 0x18
	s_waitcnt lgkmcnt(0)
	s_load_dwordx4 s[16:19], s[0:1], 0x0
	s_waitcnt lgkmcnt(0)
	v_mad_u64_u32 v[0:1], s[0:1], s18, v8, 0
	v_mad_u64_u32 v[2:3], s[0:1], s16, v24, 0
	;; [unrolled: 1-line block ×4, first 2 shown]
	v_mov_b32_e32 v1, v4
	v_lshlrev_b64 v[0:1], 2, v[0:1]
	v_mov_b32_e32 v3, v5
	v_mov_b32_e32 v6, s3
	v_lshlrev_b64 v[2:3], 2, v[2:3]
	v_add_co_u32_e64 v0, s[0:1], s2, v0
	v_addc_co_u32_e64 v1, s[0:1], v6, v1, s[0:1]
	v_add_co_u32_e64 v0, s[0:1], v0, v2
	v_addc_co_u32_e64 v1, s[0:1], v1, v3, s[0:1]
	s_mul_i32 s0, s17, 0xc4
	s_mul_hi_u32 s1, s16, 0xc4
	s_add_i32 s2, s1, s0
	s_mul_i32 s3, s16, 0xc4
	global_load_dword v2, v[0:1], off
	global_load_dword v3, v23, s[6:7]
	v_mov_b32_e32 v4, s2
	v_add_co_u32_e64 v0, s[0:1], s3, v0
	v_addc_co_u32_e64 v1, s[0:1], v1, v4, s[0:1]
	global_load_dword v4, v[0:1], off
	global_load_dword v5, v23, s[6:7] offset:196
	v_mov_b32_e32 v6, s2
	v_add_co_u32_e64 v0, s[0:1], s3, v0
	v_addc_co_u32_e64 v1, s[0:1], v1, v6, s[0:1]
	global_load_dword v6, v[0:1], off
	global_load_dword v7, v23, s[6:7] offset:392
	;; [unrolled: 5-line block ×4, first 2 shown]
	v_mov_b32_e32 v14, s2
	v_add_co_u32_e64 v0, s[0:1], s3, v0
	v_addc_co_u32_e64 v1, s[0:1], v1, v14, s[0:1]
	global_load_dword v14, v23, s[6:7] offset:980
	global_load_dword v15, v[0:1], off
	v_mov_b32_e32 v16, s2
	v_add_co_u32_e64 v0, s[0:1], s3, v0
	v_addc_co_u32_e64 v1, s[0:1], v1, v16, s[0:1]
	global_load_dword v16, v[0:1], off
	global_load_dword v17, v23, s[6:7] offset:1176
	global_load_dword v18, v23, s[6:7] offset:1372
	v_mov_b32_e32 v19, s2
	v_add_co_u32_e64 v0, s[0:1], s3, v0
	v_addc_co_u32_e64 v1, s[0:1], v1, v19, s[0:1]
	global_load_dword v19, v[0:1], off
	v_mov_b32_e32 v20, s2
	v_add_co_u32_e64 v0, s[0:1], s3, v0
	v_addc_co_u32_e64 v1, s[0:1], v1, v20, s[0:1]
	global_load_dword v20, v[0:1], off
	global_load_dword v21, v23, s[6:7] offset:1568
	v_mov_b32_e32 v22, s2
	v_add_co_u32_e64 v0, s[0:1], s3, v0
	v_addc_co_u32_e64 v1, s[0:1], v1, v22, s[0:1]
	global_load_dword v22, v[0:1], off
	global_load_dword v25, v23, s[6:7] offset:1764
	v_lshl_add_u32 v0, v24, 2, v26
	s_waitcnt vmcnt(19)
	v_lshrrev_b32_e32 v1, 16, v2
	s_waitcnt vmcnt(18)
	v_mul_f16_sdwa v27, v3, v2 dst_sel:DWORD dst_unused:UNUSED_PAD src0_sel:WORD_1 src1_sel:DWORD
	v_fma_f16 v27, v3, v1, -v27
	v_mul_f16_sdwa v1, v3, v1 dst_sel:DWORD dst_unused:UNUSED_PAD src0_sel:WORD_1 src1_sel:DWORD
	v_fma_f16 v1, v3, v2, v1
	v_pack_b32_f16 v1, v1, v27
	s_waitcnt vmcnt(17)
	v_lshrrev_b32_e32 v28, 16, v4
	s_waitcnt vmcnt(16)
	v_mul_f16_sdwa v29, v5, v4 dst_sel:DWORD dst_unused:UNUSED_PAD src0_sel:WORD_1 src1_sel:DWORD
	v_fma_f16 v2, v5, v28, -v29
	v_mul_f16_sdwa v3, v5, v28 dst_sel:DWORD dst_unused:UNUSED_PAD src0_sel:WORD_1 src1_sel:DWORD
	ds_write_b32 v0, v1
	v_fma_f16 v3, v5, v4, v3
	s_waitcnt vmcnt(15)
	v_lshrrev_b32_e32 v28, 16, v6
	s_waitcnt vmcnt(14)
	v_mul_f16_sdwa v29, v7, v6 dst_sel:DWORD dst_unused:UNUSED_PAD src0_sel:WORD_1 src1_sel:DWORD
	v_mul_f16_sdwa v1, v7, v28 dst_sel:DWORD dst_unused:UNUSED_PAD src0_sel:WORD_1 src1_sel:DWORD
	v_fma_f16 v0, v7, v28, -v29
	v_fma_f16 v1, v7, v6, v1
	v_pack_b32_f16 v2, v3, v2
	s_waitcnt vmcnt(13)
	v_lshrrev_b32_e32 v4, 16, v9
	s_waitcnt vmcnt(12)
	v_mul_f16_sdwa v5, v10, v9 dst_sel:DWORD dst_unused:UNUSED_PAD src0_sel:WORD_1 src1_sel:DWORD
	v_add_u32_e32 v3, v26, v23
	v_pack_b32_f16 v0, v1, v0
	v_fma_f16 v5, v10, v4, -v5
	v_mul_f16_sdwa v4, v10, v4 dst_sel:DWORD dst_unused:UNUSED_PAD src0_sel:WORD_1 src1_sel:DWORD
	s_waitcnt vmcnt(11)
	v_lshrrev_b32_e32 v1, 16, v12
	ds_write2_b32 v3, v2, v0 offset0:49 offset1:98
	s_waitcnt vmcnt(10)
	v_mul_f16_sdwa v0, v13, v12 dst_sel:DWORD dst_unused:UNUSED_PAD src0_sel:WORD_1 src1_sel:DWORD
	v_mul_f16_sdwa v2, v13, v1 dst_sel:DWORD dst_unused:UNUSED_PAD src0_sel:WORD_1 src1_sel:DWORD
	v_fma_f16 v4, v10, v9, v4
	v_fma_f16 v0, v13, v1, -v0
	v_fma_f16 v1, v13, v12, v2
	v_pack_b32_f16 v2, v4, v5
	v_pack_b32_f16 v0, v1, v0
	ds_write2_b32 v3, v2, v0 offset0:147 offset1:196
	s_waitcnt vmcnt(8)
	v_lshrrev_b32_e32 v0, 16, v15
	v_mul_f16_sdwa v1, v14, v0 dst_sel:DWORD dst_unused:UNUSED_PAD src0_sel:WORD_1 src1_sel:DWORD
	v_mul_f16_sdwa v2, v14, v15 dst_sel:DWORD dst_unused:UNUSED_PAD src0_sel:WORD_1 src1_sel:DWORD
	v_fma_f16 v1, v14, v15, v1
	v_fma_f16 v0, v14, v0, -v2
	v_pack_b32_f16 v0, v1, v0
	s_waitcnt vmcnt(7)
	v_lshrrev_b32_e32 v1, 16, v16
	s_waitcnt vmcnt(6)
	v_mul_f16_sdwa v2, v17, v1 dst_sel:DWORD dst_unused:UNUSED_PAD src0_sel:WORD_1 src1_sel:DWORD
	v_mul_f16_sdwa v4, v17, v16 dst_sel:DWORD dst_unused:UNUSED_PAD src0_sel:WORD_1 src1_sel:DWORD
	v_fma_f16 v2, v17, v16, v2
	v_fma_f16 v1, v17, v1, -v4
	v_pack_b32_f16 v1, v2, v1
	v_add_u32_e32 v2, 0x200, v3
	ds_write2_b32 v2, v0, v1 offset0:117 offset1:166
	s_waitcnt vmcnt(4)
	v_lshrrev_b32_e32 v0, 16, v19
	v_mul_f16_sdwa v1, v18, v0 dst_sel:DWORD dst_unused:UNUSED_PAD src0_sel:WORD_1 src1_sel:DWORD
	v_mul_f16_sdwa v2, v18, v19 dst_sel:DWORD dst_unused:UNUSED_PAD src0_sel:WORD_1 src1_sel:DWORD
	v_fma_f16 v1, v18, v19, v1
	v_fma_f16 v0, v18, v0, -v2
	v_pack_b32_f16 v0, v1, v0
	s_waitcnt vmcnt(3)
	v_lshrrev_b32_e32 v1, 16, v20
	s_waitcnt vmcnt(2)
	v_mul_f16_sdwa v2, v21, v1 dst_sel:DWORD dst_unused:UNUSED_PAD src0_sel:WORD_1 src1_sel:DWORD
	v_mul_f16_sdwa v4, v21, v20 dst_sel:DWORD dst_unused:UNUSED_PAD src0_sel:WORD_1 src1_sel:DWORD
	v_fma_f16 v2, v21, v20, v2
	v_fma_f16 v1, v21, v1, -v4
	v_pack_b32_f16 v1, v2, v1
	v_add_u32_e32 v2, 0x400, v3
	ds_write2_b32 v2, v0, v1 offset0:87 offset1:136
	s_waitcnt vmcnt(1)
	v_lshrrev_b32_e32 v0, 16, v22
	s_waitcnt vmcnt(0)
	v_mul_f16_sdwa v1, v25, v0 dst_sel:DWORD dst_unused:UNUSED_PAD src0_sel:WORD_1 src1_sel:DWORD
	v_mul_f16_sdwa v2, v25, v22 dst_sel:DWORD dst_unused:UNUSED_PAD src0_sel:WORD_1 src1_sel:DWORD
	v_fma_f16 v1, v25, v22, v1
	v_fma_f16 v0, v25, v0, -v2
	v_pack_b32_f16 v0, v1, v0
	ds_write_b32 v3, v0 offset:1764
.LBB0_3:
	s_or_b64 exec, exec, s[8:9]
	s_load_dwordx2 s[2:3], s[4:5], 0x20
	s_load_dwordx2 s[0:1], s[4:5], 0x8
	s_waitcnt lgkmcnt(0)
	s_barrier
	s_waitcnt lgkmcnt(0)
                                        ; implicit-def: $vgpr5
                                        ; implicit-def: $vgpr3
                                        ; implicit-def: $vgpr1
                                        ; implicit-def: $vgpr14
                                        ; implicit-def: $vgpr7
	s_and_saveexec_b64 s[4:5], vcc
	s_cbranch_execz .LBB0_5
; %bb.4:
	v_lshl_add_u32 v2, v11, 2, v23
	ds_read2_b32 v[6:7], v2 offset1:49
	ds_read2_b32 v[13:14], v2 offset0:98 offset1:147
	ds_read2_b32 v[0:1], v2 offset0:196 offset1:245
	v_add_u32_e32 v4, 0x400, v2
	ds_read2_b32 v[2:3], v4 offset0:38 offset1:87
	ds_read2_b32 v[4:5], v4 offset0:136 offset1:185
.LBB0_5:
	s_or_b64 exec, exec, s[4:5]
	s_waitcnt lgkmcnt(2)
	v_sub_f16_e32 v9, v13, v0
	s_waitcnt lgkmcnt(0)
	v_sub_f16_e32 v10, v4, v2
	v_add_f16_e32 v19, v10, v9
	v_add_f16_e32 v9, v4, v13
	s_movk_i32 s4, 0x3b9c
	v_sub_f16_sdwa v18, v0, v2 dst_sel:DWORD dst_unused:UNUSED_PAD src0_sel:WORD_1 src1_sel:WORD_1
	s_mov_b32 s9, 0xbb9c
	v_fma_f16 v9, v9, -0.5, v6
	v_sub_f16_sdwa v17, v13, v4 dst_sel:DWORD dst_unused:UNUSED_PAD src0_sel:WORD_1 src1_sel:WORD_1
	s_movk_i32 s5, 0x38b4
	s_mov_b32 s10, 0xb8b4
	v_fma_f16 v10, v18, s9, v9
	v_sub_f16_e32 v12, v0, v13
	v_sub_f16_e32 v15, v2, v4
	v_fma_f16 v9, v18, s4, v9
	s_movk_i32 s8, 0x34f2
	v_fma_f16 v10, v17, s5, v10
	v_add_f16_e32 v12, v15, v12
	v_fma_f16 v9, v17, s10, v9
	v_fma_f16 v15, v12, s8, v10
	;; [unrolled: 1-line block ×3, first 2 shown]
	v_add_f16_sdwa v9, v2, v0 dst_sel:DWORD dst_unused:UNUSED_PAD src0_sel:WORD_1 src1_sel:WORD_1
	v_lshrrev_b32_e32 v10, 16, v6
	v_fma_f16 v21, v9, -0.5, v10
	v_sub_f16_sdwa v9, v13, v0 dst_sel:DWORD dst_unused:UNUSED_PAD src0_sel:WORD_1 src1_sel:WORD_1
	v_sub_f16_sdwa v12, v4, v2 dst_sel:DWORD dst_unused:UNUSED_PAD src0_sel:WORD_1 src1_sel:WORD_1
	v_add_f16_e32 v25, v12, v9
	v_add_f16_sdwa v9, v4, v13 dst_sel:DWORD dst_unused:UNUSED_PAD src0_sel:WORD_1 src1_sel:WORD_1
	v_fma_f16 v9, v9, -0.5, v10
	v_sub_f16_sdwa v10, v0, v13 dst_sel:DWORD dst_unused:UNUSED_PAD src0_sel:WORD_1 src1_sel:WORD_1
	v_sub_f16_sdwa v12, v2, v4 dst_sel:DWORD dst_unused:UNUSED_PAD src0_sel:WORD_1 src1_sel:WORD_1
	v_sub_f16_e32 v32, v0, v2
	v_add_f16_e32 v10, v12, v10
	v_sub_f16_e32 v27, v13, v4
	v_fma_f16 v12, v32, s4, v9
	v_fma_f16 v9, v32, s9, v9
	;; [unrolled: 1-line block ×6, first 2 shown]
	v_sub_f16_e32 v9, v5, v3
	v_sub_f16_e32 v10, v14, v1
	v_add_f16_e32 v33, v10, v9
	v_sub_f16_e32 v9, v3, v5
	v_sub_f16_e32 v10, v1, v14
	v_add_f16_e32 v9, v10, v9
	v_add_f16_e32 v10, v14, v5
	v_fma_f16 v10, v10, -0.5, v7
	v_sub_f16_sdwa v35, v1, v3 dst_sel:DWORD dst_unused:UNUSED_PAD src0_sel:WORD_1 src1_sel:WORD_1
	v_sub_f16_sdwa v34, v14, v5 dst_sel:DWORD dst_unused:UNUSED_PAD src0_sel:WORD_1 src1_sel:WORD_1
	v_fma_f16 v12, v35, s9, v10
	v_fma_f16 v10, v35, s4, v10
	;; [unrolled: 1-line block ×6, first 2 shown]
	v_sub_f16_sdwa v10, v14, v1 dst_sel:DWORD dst_unused:UNUSED_PAD src0_sel:WORD_1 src1_sel:WORD_1
	v_sub_f16_sdwa v28, v5, v3 dst_sel:DWORD dst_unused:UNUSED_PAD src0_sel:WORD_1 src1_sel:WORD_1
	v_add_f16_e32 v38, v10, v28
	v_add_f16_sdwa v10, v1, v3 dst_sel:DWORD dst_unused:UNUSED_PAD src0_sel:WORD_1 src1_sel:WORD_1
	v_lshrrev_b32_e32 v28, 16, v7
	v_fma_f16 v37, v10, -0.5, v28
	v_add_f16_sdwa v10, v14, v5 dst_sel:DWORD dst_unused:UNUSED_PAD src0_sel:WORD_1 src1_sel:WORD_1
	v_fma_f16 v10, v10, -0.5, v28
	v_sub_f16_sdwa v28, v1, v14 dst_sel:DWORD dst_unused:UNUSED_PAD src0_sel:WORD_1 src1_sel:WORD_1
	v_sub_f16_sdwa v29, v3, v5 dst_sel:DWORD dst_unused:UNUSED_PAD src0_sel:WORD_1 src1_sel:WORD_1
	v_sub_f16_e32 v43, v1, v3
	v_add_f16_e32 v28, v28, v29
	v_sub_f16_e32 v42, v14, v5
	v_fma_f16 v29, v43, s4, v10
	v_fma_f16 v29, v42, s10, v29
	;; [unrolled: 1-line block ×6, first 2 shown]
	v_mul_f16_e32 v28, 0x3b9c, v29
	v_fma_f16 v36, v12, s8, v28
	v_mul_f16_e32 v12, 0xbb9c, v12
	v_fma_f16 v40, v29, s8, v12
	v_mul_f16_e32 v12, 0x34f2, v9
	v_fma_f16 v39, v10, s4, -v12
	v_mul_f16_e32 v10, 0x34f2, v10
	v_fma_f16 v41, v9, s9, -v10
	v_add_f16_e32 v9, v1, v3
	v_fma_f16 v47, v9, -0.5, v7
	v_fma_f16 v9, v34, s9, v47
	v_fma_f16 v9, v35, s10, v9
	;; [unrolled: 1-line block ×6, first 2 shown]
	v_mul_f16_e32 v12, 0x3a79, v9
	v_fma_f16 v44, v10, s5, -v12
	v_mul_f16_e32 v10, 0x3a79, v10
	v_fma_f16 v45, v9, s10, -v10
	v_add_f16_e32 v9, v2, v0
	v_fma_f16 v48, v9, -0.5, v6
	v_fma_f16 v9, v17, s9, v48
	v_fma_f16 v9, v18, s10, v9
	;; [unrolled: 1-line block ×6, first 2 shown]
	s_movk_i32 s8, 0x3a79
	v_sub_f16_e32 v9, v16, v39
	v_sub_f16_e32 v10, v46, v44
	;; [unrolled: 1-line block ×5, first 2 shown]
	v_mul_lo_u16_e32 v28, 10, v24
	v_sub_f16_e32 v12, v15, v36
	s_barrier
	s_and_saveexec_b64 s[4:5], vcc
	s_cbranch_execz .LBB0_7
; %bb.6:
	v_mul_f16_e32 v27, 0x3b9c, v27
	v_mul_f16_e32 v32, 0x38b4, v32
	v_sub_f16_e32 v21, v21, v27
	v_mul_f16_e32 v25, 0x34f2, v25
	v_mul_f16_e32 v34, 0x3b9c, v34
	;; [unrolled: 1-line block ×3, first 2 shown]
	v_sub_f16_e32 v21, v21, v32
	v_mul_f16_e32 v35, 0x38b4, v35
	v_mul_f16_e32 v43, 0x38b4, v43
	v_add_f16_e32 v21, v25, v21
	v_sub_f16_e32 v25, v37, v42
	v_add_f16_e32 v27, v34, v47
	v_pk_add_f16 v6, v13, v6
	v_mul_f16_e32 v17, 0x3b9c, v17
	v_mul_f16_e32 v33, 0x34f2, v33
	;; [unrolled: 1-line block ×3, first 2 shown]
	v_sub_f16_e32 v25, v25, v43
	v_add_f16_e32 v27, v35, v27
	v_pk_add_f16 v0, v0, v6
	v_mul_f16_e32 v18, 0x38b4, v18
	v_add_f16_e32 v25, v38, v25
	v_add_f16_e32 v27, v33, v27
	v_pk_add_f16 v7, v14, v7
	v_add_f16_e32 v13, v17, v48
	v_pk_add_f16 v0, v2, v0
	v_mul_f16_e32 v19, 0x34f2, v19
	v_mul_f16_e32 v32, 0x38b4, v27
	v_add_f16_e32 v13, v18, v13
	v_mul_f16_e32 v14, 0x38b4, v25
	v_pk_add_f16 v4, v4, v0
	v_pk_add_f16 v0, v1, v7
	v_fma_f16 v32, v25, s8, -v32
	v_add_f16_e32 v13, v19, v13
	v_fma_f16 v14, v27, s8, v14
	v_pk_add_f16 v0, v3, v0
	v_sub_f16_e32 v33, v21, v32
	v_sub_f16_e32 v17, v13, v14
	v_add_f16_e32 v19, v22, v41
	v_add_f16_e32 v20, v20, v40
	;; [unrolled: 1-line block ×6, first 2 shown]
	v_pk_add_f16 v5, v5, v0
	v_add_f16_e32 v18, v49, v45
	v_add_f16_e32 v22, v46, v44
	v_add_lshl_u32 v14, v11, v28, 2
	v_pk_add_f16 v0, v5, v4
	v_pack_b32_f16 v1, v13, v21
	v_pack_b32_f16 v3, v16, v19
	;; [unrolled: 1-line block ×3, first 2 shown]
	s_mov_b32 s8, 0x5040100
	ds_write2_b64 v14, v[0:1], v[2:3] offset1:1
	v_pk_add_f16 v1, v4, v5 neg_lo:[0,1] neg_hi:[0,1]
	v_pack_b32_f16 v2, v17, v33
	v_perm_b32 v3, v30, v12, s8
	v_pack_b32_f16 v0, v22, v18
	ds_write2_b64 v14, v[0:1], v[2:3] offset0:2 offset1:3
	v_perm_b32 v1, v31, v10, s8
	v_perm_b32 v0, v29, v9, s8
	ds_write_b64 v14, v[0:1] offset:32
.LBB0_7:
	s_or_b64 exec, exec, s[4:5]
	s_load_dwordx4 s[8:11], s[2:3], 0x0
	s_movk_i32 s2, 0xcd
	v_mul_lo_u16_sdwa v0, v24, s2 dst_sel:DWORD dst_unused:UNUSED_PAD src0_sel:BYTE_0 src1_sel:DWORD
	v_lshrrev_b16_e32 v17, 11, v0
	v_mul_lo_u16_e32 v0, 10, v17
	v_sub_u16_e32 v18, v24, v0
	v_mov_b32_e32 v0, 6
	v_mul_u32_u24_sdwa v0, v18, v0 dst_sel:DWORD dst_unused:UNUSED_PAD src0_sel:BYTE_0 src1_sel:DWORD
	v_lshlrev_b32_e32 v4, 2, v0
	s_waitcnt lgkmcnt(0)
	s_barrier
	global_load_dwordx4 v[0:3], v4, s[0:1]
	global_load_dwordx2 v[13:14], v4, s[0:1] offset:16
	v_add_lshl_u32 v27, v11, v24, 2
	ds_read2_b32 v[4:5], v27 offset1:70
	ds_read2_b32 v[6:7], v27 offset0:140 offset1:210
	v_add_u32_e32 v22, 0x400, v27
	ds_read_b32 v19, v27 offset:1680
	ds_read2_b32 v[15:16], v22 offset0:24 offset1:94
	s_movk_i32 s3, 0x2b26
	s_waitcnt lgkmcnt(3)
	v_lshrrev_b32_e32 v20, 16, v5
	s_waitcnt lgkmcnt(2)
	v_lshrrev_b32_e32 v21, 16, v6
	;; [unrolled: 2-line block ×4, first 2 shown]
	v_lshrrev_b32_e32 v25, 16, v7
	v_lshrrev_b32_e32 v33, 16, v15
	s_mov_b32 s4, 0xbcab
	s_movk_i32 s5, 0x39e0
	s_mov_b32 s14, 0xb9e0
	s_movk_i32 s15, 0x3574
	s_movk_i32 s2, 0x3b00
	s_mov_b32 s16, 0xb574
	s_movk_i32 s17, 0x370e
	v_mul_u32_u24_e32 v17, 0x46, v17
	v_add_u32_sdwa v17, v17, v18 dst_sel:DWORD dst_unused:UNUSED_PAD src0_sel:DWORD src1_sel:BYTE_0
	s_waitcnt vmcnt(0)
	s_barrier
	v_mul_f16_sdwa v35, v20, v0 dst_sel:DWORD dst_unused:UNUSED_PAD src0_sel:DWORD src1_sel:WORD_1
	v_mul_f16_sdwa v36, v5, v0 dst_sel:DWORD dst_unused:UNUSED_PAD src0_sel:DWORD src1_sel:WORD_1
	;; [unrolled: 1-line block ×12, first 2 shown]
	v_fma_f16 v5, v5, v0, -v35
	v_fma_f16 v20, v20, v0, v36
	v_fma_f16 v6, v6, v1, -v37
	v_fma_f16 v21, v21, v1, v38
	;; [unrolled: 2-line block ×6, first 2 shown]
	v_add_f16_e32 v35, v5, v19
	v_add_f16_e32 v36, v20, v32
	v_sub_f16_e32 v5, v5, v19
	v_sub_f16_e32 v19, v20, v32
	v_add_f16_e32 v20, v6, v16
	v_add_f16_e32 v32, v21, v34
	v_sub_f16_e32 v6, v6, v16
	v_sub_f16_e32 v16, v21, v34
	v_add_f16_e32 v21, v7, v15
	v_add_f16_e32 v34, v25, v33
	v_sub_f16_e32 v7, v15, v7
	v_sub_f16_e32 v15, v33, v25
	v_add_f16_e32 v25, v20, v35
	v_add_f16_e32 v33, v32, v36
	v_sub_f16_e32 v37, v20, v35
	v_sub_f16_e32 v38, v32, v36
	v_sub_f16_e32 v35, v35, v21
	v_sub_f16_e32 v36, v36, v34
	;; [unrolled: 1-line block ×4, first 2 shown]
	v_add_f16_e32 v39, v7, v6
	v_add_f16_e32 v40, v15, v16
	v_sub_f16_e32 v41, v7, v6
	v_sub_f16_e32 v42, v15, v16
	v_add_f16_e32 v21, v21, v25
	v_add_f16_e32 v25, v34, v33
	v_sub_f16_e32 v7, v5, v7
	v_sub_f16_e32 v15, v19, v15
	;; [unrolled: 1-line block ×4, first 2 shown]
	v_add_f16_e32 v5, v39, v5
	v_add_f16_e32 v19, v40, v19
	v_mul_f16_e32 v33, 0x3a52, v35
	v_mul_f16_e32 v34, 0x3a52, v36
	;; [unrolled: 1-line block ×6, first 2 shown]
	v_add_f16_e32 v42, v4, v21
	v_add_f16_sdwa v4, v4, v25 dst_sel:DWORD dst_unused:UNUSED_PAD src0_sel:WORD_1 src1_sel:DWORD
	v_mul_f16_e32 v41, 0x3b00, v6
	v_mul_f16_e32 v43, 0x3b00, v16
	v_fma_f16 v21, v21, s4, v42
	v_fma_f16 v25, v25, s4, v4
	;; [unrolled: 1-line block ×4, first 2 shown]
	v_fma_f16 v35, v37, s5, -v35
	v_fma_f16 v36, v38, s5, -v36
	;; [unrolled: 1-line block ×4, first 2 shown]
	v_fma_f16 v37, v7, s15, v39
	v_fma_f16 v38, v15, s15, v40
	v_fma_f16 v6, v6, s2, -v39
	v_fma_f16 v16, v16, s2, -v40
	;; [unrolled: 1-line block ×4, first 2 shown]
	v_add_f16_e32 v20, v20, v21
	v_add_f16_e32 v32, v32, v25
	;; [unrolled: 1-line block ×6, first 2 shown]
	v_fma_f16 v33, v5, s17, v37
	v_fma_f16 v34, v19, s17, v38
	;; [unrolled: 1-line block ×6, first 2 shown]
	v_add_f16_e32 v15, v34, v20
	v_sub_f16_e32 v19, v32, v33
	v_add_f16_e32 v37, v7, v21
	v_sub_f16_e32 v38, v25, v5
	v_sub_f16_e32 v39, v35, v16
	v_add_f16_e32 v40, v6, v36
	v_sub_f16_e32 v7, v21, v7
	v_add_f16_e32 v21, v33, v32
	v_add_lshl_u32 v32, v11, v17, 2
	v_pack_b32_f16 v4, v42, v4
	v_pack_b32_f16 v11, v15, v19
	v_mad_u64_u32 v[17:18], s[0:1], v24, 24, s[0:1]
	v_add_f16_e32 v16, v16, v35
	v_sub_f16_e32 v6, v36, v6
	v_add_f16_e32 v5, v5, v25
	ds_write2_b32 v32, v4, v11 offset1:10
	v_pack_b32_f16 v4, v37, v38
	v_pack_b32_f16 v11, v39, v40
	v_sub_f16_e32 v20, v20, v34
	ds_write2_b32 v32, v4, v11 offset0:20 offset1:30
	v_pack_b32_f16 v4, v16, v6
	v_pack_b32_f16 v5, v7, v5
	ds_write2_b32 v32, v4, v5 offset0:40 offset1:50
	v_pack_b32_f16 v4, v20, v21
	ds_write_b32 v32, v4 offset:240
	s_waitcnt lgkmcnt(0)
	s_barrier
	global_load_dwordx4 v[4:7], v[17:18], off offset:240
	global_load_dwordx2 v[15:16], v[17:18], off offset:256
	ds_read2_b32 v[18:19], v27 offset1:70
	ds_read2_b32 v[20:21], v27 offset0:140 offset1:210
	ds_read2_b32 v[33:34], v22 offset0:24 offset1:94
	ds_read_b32 v11, v27 offset:1680
	s_waitcnt lgkmcnt(3)
	v_lshrrev_b32_e32 v17, 16, v19
	s_waitcnt lgkmcnt(2)
	v_lshrrev_b32_e32 v25, 16, v21
	;; [unrolled: 2-line block ×3, first 2 shown]
	v_lshrrev_b32_e32 v36, 16, v34
	s_waitcnt lgkmcnt(0)
	v_lshrrev_b32_e32 v37, 16, v11
	v_lshrrev_b32_e32 v22, 16, v20
	s_waitcnt vmcnt(1)
	v_mul_f16_sdwa v38, v17, v4 dst_sel:DWORD dst_unused:UNUSED_PAD src0_sel:DWORD src1_sel:WORD_1
	v_mul_f16_sdwa v39, v19, v4 dst_sel:DWORD dst_unused:UNUSED_PAD src0_sel:DWORD src1_sel:WORD_1
	v_fma_f16 v19, v19, v4, -v38
	v_mul_f16_sdwa v38, v25, v6 dst_sel:DWORD dst_unused:UNUSED_PAD src0_sel:DWORD src1_sel:WORD_1
	v_fma_f16 v38, v21, v6, -v38
	v_mul_f16_sdwa v21, v21, v6 dst_sel:DWORD dst_unused:UNUSED_PAD src0_sel:DWORD src1_sel:WORD_1
	v_fma_f16 v21, v25, v6, v21
	v_mul_f16_sdwa v25, v35, v7 dst_sel:DWORD dst_unused:UNUSED_PAD src0_sel:DWORD src1_sel:WORD_1
	v_fma_f16 v25, v33, v7, -v25
	v_mul_f16_sdwa v33, v33, v7 dst_sel:DWORD dst_unused:UNUSED_PAD src0_sel:DWORD src1_sel:WORD_1
	v_fma_f16 v33, v35, v7, v33
	s_waitcnt vmcnt(0)
	v_mul_f16_sdwa v35, v36, v15 dst_sel:DWORD dst_unused:UNUSED_PAD src0_sel:DWORD src1_sel:WORD_1
	v_fma_f16 v35, v34, v15, -v35
	v_mul_f16_sdwa v34, v34, v15 dst_sel:DWORD dst_unused:UNUSED_PAD src0_sel:DWORD src1_sel:WORD_1
	v_fma_f16 v34, v36, v15, v34
	v_mul_f16_sdwa v36, v37, v16 dst_sel:DWORD dst_unused:UNUSED_PAD src0_sel:DWORD src1_sel:WORD_1
	v_mul_f16_sdwa v40, v22, v5 dst_sel:DWORD dst_unused:UNUSED_PAD src0_sel:DWORD src1_sel:WORD_1
	;; [unrolled: 1-line block ×3, first 2 shown]
	v_fma_f16 v36, v11, v16, -v36
	v_mul_f16_sdwa v11, v11, v16 dst_sel:DWORD dst_unused:UNUSED_PAD src0_sel:DWORD src1_sel:WORD_1
	v_fma_f16 v17, v17, v4, v39
	v_fma_f16 v20, v20, v5, -v40
	v_fma_f16 v22, v22, v5, v41
	v_fma_f16 v11, v37, v16, v11
	v_add_f16_e32 v37, v19, v36
	v_add_f16_e32 v39, v17, v11
	v_sub_f16_e32 v19, v19, v36
	v_sub_f16_e32 v11, v17, v11
	v_add_f16_e32 v17, v20, v35
	v_add_f16_e32 v36, v22, v34
	v_sub_f16_e32 v20, v20, v35
	v_sub_f16_e32 v22, v22, v34
	;; [unrolled: 4-line block ×4, first 2 shown]
	v_sub_f16_e32 v37, v37, v34
	v_sub_f16_e32 v39, v39, v35
	;; [unrolled: 1-line block ×4, first 2 shown]
	v_add_f16_e32 v17, v25, v20
	v_add_f16_e32 v43, v21, v22
	v_sub_f16_e32 v44, v25, v20
	v_sub_f16_e32 v45, v21, v22
	v_add_f16_e32 v34, v34, v33
	v_add_f16_e32 v35, v35, v38
	v_sub_f16_e32 v25, v19, v25
	v_sub_f16_e32 v21, v11, v21
	v_sub_f16_e32 v20, v20, v19
	v_sub_f16_e32 v22, v22, v11
	v_add_f16_e32 v19, v17, v19
	v_add_f16_e32 v11, v43, v11
	;; [unrolled: 1-line block ×3, first 2 shown]
	v_add_f16_sdwa v33, v18, v35 dst_sel:DWORD dst_unused:UNUSED_PAD src0_sel:WORD_1 src1_sel:DWORD
	v_mul_f16_e32 v18, 0x3a52, v37
	v_mul_f16_e32 v37, 0x3a52, v39
	;; [unrolled: 1-line block ×8, first 2 shown]
	v_fma_f16 v34, v34, s4, v17
	v_fma_f16 v35, v35, s4, v33
	;; [unrolled: 1-line block ×4, first 2 shown]
	v_fma_f16 v38, v40, s5, -v38
	v_fma_f16 v39, v41, s5, -v39
	;; [unrolled: 1-line block ×4, first 2 shown]
	v_fma_f16 v40, v25, s15, v43
	v_fma_f16 v41, v21, s15, v44
	v_fma_f16 v20, v20, s2, -v43
	v_fma_f16 v22, v22, s2, -v44
	;; [unrolled: 1-line block ×4, first 2 shown]
	v_add_f16_e32 v42, v42, v34
	v_add_f16_e32 v43, v36, v35
	v_fma_f16 v40, v19, s17, v40
	v_fma_f16 v41, v11, s17, v41
	v_add_f16_e32 v36, v38, v34
	v_add_f16_e32 v38, v39, v35
	;; [unrolled: 1-line block ×4, first 2 shown]
	v_fma_f16 v45, v19, s17, v20
	v_fma_f16 v22, v11, s17, v22
	;; [unrolled: 1-line block ×4, first 2 shown]
	v_add_f16_e32 v18, v41, v42
	v_sub_f16_e32 v35, v43, v40
	v_add_f16_e32 v19, v11, v39
	v_sub_f16_e32 v34, v44, v25
	v_sub_f16_e32 v20, v36, v22
	v_add_f16_e32 v37, v45, v38
	v_add_f16_e32 v21, v22, v36
	v_sub_f16_e32 v36, v38, v45
	v_sub_f16_e32 v22, v39, v11
	v_add_f16_e32 v39, v25, v44
	v_sub_f16_e32 v11, v42, v41
	v_add_f16_e32 v38, v40, v43
	v_lshl_add_u32 v25, v24, 2, v26
	v_pack_b32_f16 v40, v17, v33
	v_pack_b32_f16 v41, v18, v35
	ds_write2_b32 v25, v40, v41 offset1:70
	v_pack_b32_f16 v40, v19, v34
	v_pack_b32_f16 v41, v20, v37
	ds_write2_b32 v25, v40, v41 offset0:140 offset1:210
	v_pack_b32_f16 v41, v21, v36
	v_pack_b32_f16 v42, v22, v39
	v_add_u32_e32 v40, 0x400, v25
	ds_write2_b32 v40, v41, v42 offset0:24 offset1:94
	v_pack_b32_f16 v41, v11, v38
	ds_write_b32 v25, v41 offset:1680
	s_waitcnt lgkmcnt(0)
	s_barrier
	s_and_saveexec_b64 s[0:1], vcc
	s_cbranch_execz .LBB0_9
; %bb.8:
	global_load_dword v44, v23, s[6:7] offset:1960
	ds_read2_b32 v[41:42], v25 offset1:49
	s_add_u32 s2, s6, 0x7a8
	s_addc_u32 s3, s7, 0
	s_waitcnt lgkmcnt(0)
	v_lshrrev_b32_e32 v43, 16, v41
	s_waitcnt vmcnt(0)
	v_mul_f16_sdwa v45, v43, v44 dst_sel:DWORD dst_unused:UNUSED_PAD src0_sel:DWORD src1_sel:WORD_1
	v_fma_f16 v45, v41, v44, -v45
	v_mul_f16_sdwa v41, v41, v44 dst_sel:DWORD dst_unused:UNUSED_PAD src0_sel:DWORD src1_sel:WORD_1
	v_fma_f16 v41, v43, v44, v41
	global_load_dword v44, v23, s[2:3] offset:196
	v_lshrrev_b32_e32 v43, 16, v42
	v_pack_b32_f16 v41, v45, v41
	s_waitcnt vmcnt(0)
	v_mul_f16_sdwa v45, v43, v44 dst_sel:DWORD dst_unused:UNUSED_PAD src0_sel:DWORD src1_sel:WORD_1
	v_fma_f16 v45, v42, v44, -v45
	v_mul_f16_sdwa v42, v42, v44 dst_sel:DWORD dst_unused:UNUSED_PAD src0_sel:DWORD src1_sel:WORD_1
	v_fma_f16 v42, v43, v44, v42
	global_load_dword v44, v23, s[2:3] offset:392
	v_pack_b32_f16 v42, v45, v42
	ds_write2_b32 v25, v41, v42 offset1:49
	ds_read2_b32 v[41:42], v25 offset0:98 offset1:147
	s_waitcnt lgkmcnt(0)
	v_lshrrev_b32_e32 v43, 16, v41
	s_waitcnt vmcnt(0)
	v_mul_f16_sdwa v45, v43, v44 dst_sel:DWORD dst_unused:UNUSED_PAD src0_sel:DWORD src1_sel:WORD_1
	v_fma_f16 v45, v41, v44, -v45
	v_mul_f16_sdwa v41, v41, v44 dst_sel:DWORD dst_unused:UNUSED_PAD src0_sel:DWORD src1_sel:WORD_1
	v_fma_f16 v41, v43, v44, v41
	global_load_dword v44, v23, s[2:3] offset:588
	v_lshrrev_b32_e32 v43, 16, v42
	v_pack_b32_f16 v41, v45, v41
	s_waitcnt vmcnt(0)
	v_mul_f16_sdwa v45, v43, v44 dst_sel:DWORD dst_unused:UNUSED_PAD src0_sel:DWORD src1_sel:WORD_1
	v_fma_f16 v45, v42, v44, -v45
	v_mul_f16_sdwa v42, v42, v44 dst_sel:DWORD dst_unused:UNUSED_PAD src0_sel:DWORD src1_sel:WORD_1
	v_fma_f16 v42, v43, v44, v42
	global_load_dword v44, v23, s[2:3] offset:784
	v_pack_b32_f16 v42, v45, v42
	ds_write2_b32 v25, v41, v42 offset0:98 offset1:147
	ds_read2_b32 v[41:42], v25 offset0:196 offset1:245
	s_waitcnt lgkmcnt(0)
	v_lshrrev_b32_e32 v43, 16, v41
	s_waitcnt vmcnt(0)
	v_mul_f16_sdwa v45, v43, v44 dst_sel:DWORD dst_unused:UNUSED_PAD src0_sel:DWORD src1_sel:WORD_1
	v_fma_f16 v45, v41, v44, -v45
	v_mul_f16_sdwa v41, v41, v44 dst_sel:DWORD dst_unused:UNUSED_PAD src0_sel:DWORD src1_sel:WORD_1
	v_fma_f16 v41, v43, v44, v41
	global_load_dword v44, v23, s[2:3] offset:980
	v_lshrrev_b32_e32 v43, 16, v42
	v_pack_b32_f16 v41, v45, v41
	s_waitcnt vmcnt(0)
	v_mul_f16_sdwa v45, v43, v44 dst_sel:DWORD dst_unused:UNUSED_PAD src0_sel:DWORD src1_sel:WORD_1
	v_fma_f16 v45, v42, v44, -v45
	v_mul_f16_sdwa v42, v42, v44 dst_sel:DWORD dst_unused:UNUSED_PAD src0_sel:DWORD src1_sel:WORD_1
	v_fma_f16 v42, v43, v44, v42
	global_load_dword v44, v23, s[2:3] offset:1176
	v_pack_b32_f16 v42, v45, v42
	ds_write2_b32 v25, v41, v42 offset0:196 offset1:245
	;; [unrolled: 19-line block ×3, first 2 shown]
	ds_read2_b32 v[41:42], v40 offset0:136 offset1:185
	s_waitcnt lgkmcnt(0)
	v_lshrrev_b32_e32 v43, 16, v41
	s_waitcnt vmcnt(0)
	v_mul_f16_sdwa v45, v43, v44 dst_sel:DWORD dst_unused:UNUSED_PAD src0_sel:DWORD src1_sel:WORD_1
	v_fma_f16 v45, v41, v44, -v45
	v_mul_f16_sdwa v41, v41, v44 dst_sel:DWORD dst_unused:UNUSED_PAD src0_sel:DWORD src1_sel:WORD_1
	v_fma_f16 v41, v43, v44, v41
	global_load_dword v44, v23, s[2:3] offset:1764
	v_lshrrev_b32_e32 v43, 16, v42
	v_pack_b32_f16 v41, v45, v41
	s_waitcnt vmcnt(0)
	v_mul_f16_sdwa v45, v43, v44 dst_sel:DWORD dst_unused:UNUSED_PAD src0_sel:DWORD src1_sel:WORD_1
	v_fma_f16 v45, v42, v44, -v45
	v_mul_f16_sdwa v42, v42, v44 dst_sel:DWORD dst_unused:UNUSED_PAD src0_sel:DWORD src1_sel:WORD_1
	v_fma_f16 v42, v43, v44, v42
	v_pack_b32_f16 v42, v45, v42
	ds_write2_b32 v40, v41, v42 offset0:136 offset1:185
.LBB0_9:
	s_or_b64 exec, exec, s[0:1]
	s_waitcnt lgkmcnt(0)
	s_barrier
	s_and_saveexec_b64 s[0:1], vcc
	s_cbranch_execz .LBB0_11
; %bb.10:
	v_add_u32_e32 v9, 0x400, v25
	ds_read2_b32 v[17:18], v25 offset1:49
	ds_read2_b32 v[19:20], v25 offset0:98 offset1:147
	ds_read2_b32 v[21:22], v25 offset0:196 offset1:245
	;; [unrolled: 1-line block ×4, first 2 shown]
	s_waitcnt lgkmcnt(4)
	v_lshrrev_b32_e32 v33, 16, v17
	v_lshrrev_b32_e32 v35, 16, v18
	s_waitcnt lgkmcnt(3)
	v_lshrrev_b32_e32 v34, 16, v19
	v_lshrrev_b32_e32 v37, 16, v20
	;; [unrolled: 3-line block ×5, first 2 shown]
.LBB0_11:
	s_or_b64 exec, exec, s[0:1]
	s_barrier
	s_and_saveexec_b64 s[0:1], vcc
	s_cbranch_execz .LBB0_13
; %bb.12:
	v_sub_f16_e32 v57, v36, v34
	v_sub_f16_e32 v58, v38, v29
	;; [unrolled: 1-line block ×4, first 2 shown]
	v_add_f16_e32 v57, v58, v57
	v_add_f16_e32 v58, v29, v34
	;; [unrolled: 1-line block ×4, first 2 shown]
	s_mov_b32 s2, 0xbb9c
	v_sub_f16_e32 v44, v21, v11
	s_movk_i32 s5, 0x3b9c
	v_sub_f16_e32 v50, v37, v39
	v_sub_f16_e32 v51, v31, v30
	v_fma_f16 v58, v58, -0.5, v33
	v_sub_f16_e32 v60, v22, v20
	v_sub_f16_e32 v61, v12, v10
	;; [unrolled: 1-line block ×4, first 2 shown]
	v_fma_f16 v41, v41, -0.5, v33
	v_sub_f16_e32 v42, v19, v9
	s_mov_b32 s3, 0xb8b4
	v_sub_f16_e32 v45, v20, v22
	v_sub_f16_e32 v46, v10, v12
	s_movk_i32 s14, 0x38b4
	v_add_f16_e32 v50, v50, v51
	v_add_f16_e32 v51, v39, v30
	v_fma_f16 v59, v44, s5, v58
	v_add_f16_e32 v60, v60, v61
	v_add_f16_e32 v61, v20, v10
	;; [unrolled: 1-line block ×4, first 2 shown]
	v_fma_f16 v58, v44, s2, v58
	v_fma_f16 v43, v42, s2, v41
	s_movk_i32 s4, 0x34f2
	v_add_f16_e32 v45, v45, v46
	v_add_f16_e32 v46, v22, v12
	v_sub_f16_e32 v49, v39, v30
	v_fma_f16 v51, v51, -0.5, v35
	v_fma_f16 v59, v42, s3, v59
	v_fma_f16 v61, v61, -0.5, v18
	v_fma_f16 v64, v64, -0.5, v35
	v_fma_f16 v58, v42, s14, v58
	v_fma_f16 v41, v42, s5, v41
	v_add_f16_e32 v35, v37, v35
	v_fma_f16 v43, v44, s3, v43
	v_fma_f16 v46, v46, -0.5, v18
	v_sub_f16_e32 v47, v37, v31
	v_sub_f16_e32 v52, v20, v10
	v_fma_f16 v59, v57, s4, v59
	v_fma_f16 v62, v49, s2, v61
	;; [unrolled: 1-line block ×5, first 2 shown]
	v_add_f16_e32 v35, v39, v35
	v_fma_f16 v43, v40, s4, v43
	v_fma_f16 v48, v47, s5, v46
	;; [unrolled: 1-line block ×3, first 2 shown]
	v_sub_f16_e32 v54, v22, v12
	v_fma_f16 v62, v47, s14, v62
	v_fma_f16 v58, v47, s3, v58
	;; [unrolled: 1-line block ×4, first 2 shown]
	v_add_f16_e32 v30, v30, v35
	v_sub_f16_e32 v35, v19, v21
	v_sub_f16_e32 v37, v9, v11
	;; [unrolled: 1-line block ×4, first 2 shown]
	v_fma_f16 v53, v54, s3, v53
	v_add_f16_e32 v33, v34, v33
	v_add_f16_e32 v35, v37, v35
	;; [unrolled: 1-line block ×5, first 2 shown]
	v_fma_f16 v48, v49, s14, v48
	v_fma_f16 v53, v50, s4, v53
	v_add_f16_e32 v33, v36, v33
	v_fma_f16 v37, v37, -0.5, v17
	v_fma_f16 v47, v47, -0.5, v17
	v_add_f16_e32 v17, v19, v17
	v_fma_f16 v48, v45, s4, v48
	s_mov_b32 s15, 0xba79
	v_mul_f16_e32 v55, 0xba79, v53
	v_add_f16_e32 v33, v38, v33
	v_sub_f16_e32 v36, v36, v38
	v_mul_f16_e32 v38, 0xb8b4, v53
	v_add_f16_e32 v17, v21, v17
	v_fma_f16 v55, v48, s14, v55
	v_fma_f16 v62, v60, s4, v62
	;; [unrolled: 1-line block ×6, first 2 shown]
	v_add_f16_e32 v33, v29, v33
	v_sub_f16_e32 v29, v34, v29
	v_fma_f16 v38, v48, s15, v38
	v_fma_f16 v48, v36, s2, v47
	;; [unrolled: 1-line block ×3, first 2 shown]
	v_add_f16_e32 v11, v11, v17
	v_fma_f16 v65, v52, s3, v65
	v_fma_f16 v60, v52, s14, v60
	;; [unrolled: 1-line block ×7, first 2 shown]
	v_add_f16_e32 v9, v9, v11
	v_add_f16_e32 v11, v20, v18
	v_fma_f16 v65, v63, s4, v65
	v_fma_f16 v60, v63, s4, v60
	v_fma_f16 v41, v49, s3, v41
	v_fma_f16 v42, v50, s4, v42
	v_fma_f16 v34, v36, s14, v34
	v_fma_f16 v29, v36, s3, v29
	v_add_f16_e32 v11, v22, v11
	s_mov_b32 s16, 0xb4f2
	v_mul_f16_e32 v66, 0xb4f2, v65
	v_mul_f16_e32 v61, 0x34f2, v60
	v_fma_f16 v41, v45, s4, v41
	s_movk_i32 s17, 0x3a79
	v_mul_f16_e32 v44, 0x3a79, v42
	v_fma_f16 v34, v35, s4, v34
	v_fma_f16 v48, v46, s4, v48
	v_mul_f16_e32 v49, 0xbb9c, v65
	v_fma_f16 v46, v46, s4, v47
	v_mul_f16_e32 v47, 0xbb9c, v60
	;; [unrolled: 2-line block ×3, first 2 shown]
	v_add_f16_e32 v11, v12, v11
	v_fma_f16 v66, v62, s5, v66
	v_fma_f16 v61, v58, s5, v61
	;; [unrolled: 1-line block ×3, first 2 shown]
	v_add_f16_e32 v30, v31, v30
	v_fma_f16 v49, v62, s16, v49
	v_fma_f16 v47, v58, s4, v47
	v_fma_f16 v35, v41, s17, v35
	v_add_f16_e32 v10, v10, v11
	v_sub_f16_e32 v31, v33, v30
	v_sub_f16_e32 v36, v29, v35
	v_add_f16_e32 v11, v59, v66
	v_add_f16_e32 v12, v57, v61
	;; [unrolled: 1-line block ×8, first 2 shown]
	v_sub_f16_e32 v63, v57, v61
	v_sub_f16_e32 v45, v40, v44
	;; [unrolled: 1-line block ×4, first 2 shown]
	v_add_f16_e32 v18, v43, v55
	v_add_f16_e32 v21, v34, v38
	v_lshl_add_u32 v26, v28, 2, v26
	v_pack_b32_f16 v10, v22, v11
	v_pack_b32_f16 v9, v30, v12
	;; [unrolled: 1-line block ×4, first 2 shown]
	v_sub_f16_e32 v56, v43, v55
	v_sub_f16_e32 v67, v59, v66
	;; [unrolled: 1-line block ×4, first 2 shown]
	ds_write2_b64 v26, v[11:12], v[9:10] offset1:1
	v_pack_b32_f16 v10, v51, v63
	v_pack_b32_f16 v9, v36, v45
	;; [unrolled: 1-line block ×4, first 2 shown]
	ds_write2_b64 v26, v[11:12], v[9:10] offset0:2 offset1:3
	v_pack_b32_f16 v10, v39, v56
	v_pack_b32_f16 v9, v50, v67
	ds_write_b64 v26, v[9:10] offset:32
.LBB0_13:
	s_or_b64 exec, exec, s[0:1]
	s_waitcnt lgkmcnt(0)
	s_barrier
	ds_read2_b32 v[9:10], v27 offset1:70
	ds_read2_b32 v[11:12], v27 offset0:140 offset1:210
	v_add_u32_e32 v19, 0x400, v27
	ds_read2_b32 v[17:18], v19 offset0:24 offset1:94
	ds_read_b32 v21, v27 offset:1680
	s_waitcnt lgkmcnt(3)
	v_lshrrev_b32_e32 v20, 16, v10
	v_mul_f16_sdwa v31, v0, v20 dst_sel:DWORD dst_unused:UNUSED_PAD src0_sel:WORD_1 src1_sel:DWORD
	s_waitcnt lgkmcnt(2)
	v_lshrrev_b32_e32 v22, 16, v11
	v_fma_f16 v31, v0, v10, v31
	v_mul_f16_sdwa v10, v0, v10 dst_sel:DWORD dst_unused:UNUSED_PAD src0_sel:WORD_1 src1_sel:DWORD
	v_fma_f16 v0, v0, v20, -v10
	v_mul_f16_sdwa v10, v1, v22 dst_sel:DWORD dst_unused:UNUSED_PAD src0_sel:WORD_1 src1_sel:DWORD
	v_lshrrev_b32_e32 v26, 16, v12
	v_fma_f16 v10, v1, v11, v10
	v_mul_f16_sdwa v11, v1, v11 dst_sel:DWORD dst_unused:UNUSED_PAD src0_sel:WORD_1 src1_sel:DWORD
	v_fma_f16 v1, v1, v22, -v11
	v_mul_f16_sdwa v11, v2, v26 dst_sel:DWORD dst_unused:UNUSED_PAD src0_sel:WORD_1 src1_sel:DWORD
	s_waitcnt lgkmcnt(1)
	v_lshrrev_b32_e32 v28, 16, v17
	v_fma_f16 v11, v2, v12, v11
	v_mul_f16_sdwa v12, v2, v12 dst_sel:DWORD dst_unused:UNUSED_PAD src0_sel:WORD_1 src1_sel:DWORD
	v_fma_f16 v2, v2, v26, -v12
	v_mul_f16_sdwa v12, v3, v28 dst_sel:DWORD dst_unused:UNUSED_PAD src0_sel:WORD_1 src1_sel:DWORD
	v_lshrrev_b32_e32 v29, 16, v18
	v_fma_f16 v12, v3, v17, v12
	v_mul_f16_sdwa v17, v3, v17 dst_sel:DWORD dst_unused:UNUSED_PAD src0_sel:WORD_1 src1_sel:DWORD
	v_fma_f16 v3, v3, v28, -v17
	v_mul_f16_sdwa v17, v13, v29 dst_sel:DWORD dst_unused:UNUSED_PAD src0_sel:WORD_1 src1_sel:DWORD
	s_waitcnt lgkmcnt(0)
	v_lshrrev_b32_e32 v30, 16, v21
	v_fma_f16 v17, v13, v18, v17
	v_mul_f16_sdwa v18, v13, v18 dst_sel:DWORD dst_unused:UNUSED_PAD src0_sel:WORD_1 src1_sel:DWORD
	v_fma_f16 v13, v13, v29, -v18
	v_mul_f16_sdwa v18, v14, v30 dst_sel:DWORD dst_unused:UNUSED_PAD src0_sel:WORD_1 src1_sel:DWORD
	v_mul_f16_sdwa v20, v14, v21 dst_sel:DWORD dst_unused:UNUSED_PAD src0_sel:WORD_1 src1_sel:DWORD
	v_fma_f16 v18, v14, v21, v18
	v_fma_f16 v14, v14, v30, -v20
	v_add_f16_e32 v20, v31, v18
	v_add_f16_e32 v21, v0, v14
	v_sub_f16_e32 v0, v0, v14
	v_add_f16_e32 v14, v10, v17
	v_add_f16_e32 v22, v1, v13
	v_sub_f16_e32 v18, v31, v18
	v_sub_f16_e32 v10, v10, v17
	;; [unrolled: 1-line block ×3, first 2 shown]
	v_add_f16_e32 v13, v11, v12
	v_add_f16_e32 v17, v2, v3
	v_sub_f16_e32 v11, v12, v11
	v_sub_f16_e32 v2, v3, v2
	v_add_f16_e32 v3, v14, v20
	v_add_f16_e32 v12, v22, v21
	v_sub_f16_e32 v26, v14, v20
	v_sub_f16_e32 v28, v22, v21
	;; [unrolled: 1-line block ×6, first 2 shown]
	v_add_f16_e32 v29, v11, v10
	v_add_f16_e32 v30, v2, v1
	v_sub_f16_e32 v31, v11, v10
	v_sub_f16_e32 v33, v2, v1
	;; [unrolled: 1-line block ×4, first 2 shown]
	v_add_f16_e32 v3, v13, v3
	v_add_f16_e32 v12, v17, v12
	v_sub_f16_e32 v11, v18, v11
	v_sub_f16_e32 v2, v0, v2
	v_add_f16_e32 v13, v29, v18
	v_add_f16_e32 v0, v30, v0
	;; [unrolled: 1-line block ×3, first 2 shown]
	v_add_f16_sdwa v9, v9, v12 dst_sel:DWORD dst_unused:UNUSED_PAD src0_sel:WORD_1 src1_sel:DWORD
	v_mul_f16_e32 v18, 0x3a52, v20
	v_mul_f16_e32 v20, 0x3a52, v21
	s_movk_i32 s0, 0x2b26
	v_mul_f16_e32 v21, 0x2b26, v14
	v_mul_f16_e32 v29, 0x2b26, v22
	v_mul_f16_e32 v30, 0x3846, v31
	v_mul_f16_e32 v31, 0x3846, v33
	s_mov_b32 s1, 0xbb00
	v_mul_f16_e32 v33, 0xbb00, v10
	v_mul_f16_e32 v34, 0xbb00, v1
	s_mov_b32 s2, 0xbcab
	s_movk_i32 s3, 0x39e0
	s_mov_b32 s4, 0xb9e0
	s_mov_b32 s5, 0xb574
	s_movk_i32 s14, 0x3574
	v_fma_f16 v3, v3, s2, v17
	v_fma_f16 v12, v12, s2, v9
	;; [unrolled: 1-line block ×4, first 2 shown]
	v_fma_f16 v21, v26, s3, -v21
	v_fma_f16 v29, v28, s3, -v29
	;; [unrolled: 1-line block ×4, first 2 shown]
	v_fma_f16 v26, v11, s5, v30
	v_fma_f16 v28, v2, s5, v31
	v_fma_f16 v10, v10, s1, -v30
	v_fma_f16 v1, v1, s1, -v31
	;; [unrolled: 1-line block ×4, first 2 shown]
	s_mov_b32 s15, 0xb70e
	v_add_f16_e32 v14, v14, v3
	v_add_f16_e32 v22, v22, v12
	;; [unrolled: 1-line block ×6, first 2 shown]
	v_fma_f16 v18, v13, s15, v26
	v_fma_f16 v20, v0, s15, v28
	;; [unrolled: 1-line block ×6, first 2 shown]
	v_add_f16_e32 v2, v20, v14
	v_sub_f16_e32 v13, v22, v18
	v_add_f16_e32 v26, v0, v3
	v_sub_f16_e32 v30, v21, v1
	v_add_f16_e32 v31, v10, v29
	v_add_f16_e32 v1, v1, v21
	v_sub_f16_e32 v10, v29, v10
	v_sub_f16_e32 v0, v3, v0
	v_add_f16_e32 v3, v11, v12
	v_sub_f16_e32 v28, v12, v11
	v_sub_f16_e32 v11, v14, v20
	v_add_f16_e32 v12, v18, v22
	v_pack_b32_f16 v9, v17, v9
	v_pack_b32_f16 v2, v2, v13
	v_pack_b32_f16 v1, v1, v10
	v_pack_b32_f16 v0, v0, v3
	s_barrier
	ds_write2_b32 v32, v9, v2 offset1:10
	v_pack_b32_f16 v2, v26, v28
	v_pack_b32_f16 v9, v30, v31
	ds_write2_b32 v32, v1, v0 offset0:40 offset1:50
	v_pack_b32_f16 v0, v11, v12
	ds_write2_b32 v32, v2, v9 offset0:20 offset1:30
	ds_write_b32 v32, v0 offset:240
	s_waitcnt lgkmcnt(0)
	s_barrier
	ds_read2_b32 v[0:1], v27 offset1:70
	ds_read2_b32 v[2:3], v27 offset0:140 offset1:210
	ds_read2_b32 v[9:10], v19 offset0:24 offset1:94
	ds_read_b32 v12, v27 offset:1680
	s_waitcnt lgkmcnt(3)
	v_lshrrev_b32_e32 v11, 16, v1
	v_mul_f16_sdwa v20, v4, v11 dst_sel:DWORD dst_unused:UNUSED_PAD src0_sel:WORD_1 src1_sel:DWORD
	s_waitcnt lgkmcnt(2)
	v_lshrrev_b32_e32 v13, 16, v2
	v_fma_f16 v20, v4, v1, v20
	v_mul_f16_sdwa v1, v4, v1 dst_sel:DWORD dst_unused:UNUSED_PAD src0_sel:WORD_1 src1_sel:DWORD
	v_fma_f16 v1, v4, v11, -v1
	v_mul_f16_sdwa v4, v5, v13 dst_sel:DWORD dst_unused:UNUSED_PAD src0_sel:WORD_1 src1_sel:DWORD
	v_lshrrev_b32_e32 v14, 16, v3
	v_fma_f16 v4, v5, v2, v4
	v_mul_f16_sdwa v2, v5, v2 dst_sel:DWORD dst_unused:UNUSED_PAD src0_sel:WORD_1 src1_sel:DWORD
	v_fma_f16 v2, v5, v13, -v2
	v_mul_f16_sdwa v5, v6, v14 dst_sel:DWORD dst_unused:UNUSED_PAD src0_sel:WORD_1 src1_sel:DWORD
	s_waitcnt lgkmcnt(1)
	v_lshrrev_b32_e32 v17, 16, v9
	v_fma_f16 v5, v6, v3, v5
	v_mul_f16_sdwa v3, v6, v3 dst_sel:DWORD dst_unused:UNUSED_PAD src0_sel:WORD_1 src1_sel:DWORD
	v_fma_f16 v3, v6, v14, -v3
	v_mul_f16_sdwa v6, v7, v17 dst_sel:DWORD dst_unused:UNUSED_PAD src0_sel:WORD_1 src1_sel:DWORD
	v_lshrrev_b32_e32 v18, 16, v10
	s_waitcnt lgkmcnt(0)
	v_lshrrev_b32_e32 v19, 16, v12
	v_fma_f16 v6, v7, v9, v6
	v_mul_f16_sdwa v9, v7, v9 dst_sel:DWORD dst_unused:UNUSED_PAD src0_sel:WORD_1 src1_sel:DWORD
	v_fma_f16 v7, v7, v17, -v9
	v_mul_f16_sdwa v9, v15, v18 dst_sel:DWORD dst_unused:UNUSED_PAD src0_sel:WORD_1 src1_sel:DWORD
	v_mul_f16_sdwa v11, v16, v19 dst_sel:DWORD dst_unused:UNUSED_PAD src0_sel:WORD_1 src1_sel:DWORD
	v_fma_f16 v9, v15, v10, v9
	v_mul_f16_sdwa v10, v15, v10 dst_sel:DWORD dst_unused:UNUSED_PAD src0_sel:WORD_1 src1_sel:DWORD
	v_fma_f16 v11, v16, v12, v11
	v_mul_f16_sdwa v12, v16, v12 dst_sel:DWORD dst_unused:UNUSED_PAD src0_sel:WORD_1 src1_sel:DWORD
	v_fma_f16 v10, v15, v18, -v10
	v_fma_f16 v12, v16, v19, -v12
	v_add_f16_e32 v13, v20, v11
	v_add_f16_e32 v14, v1, v12
	v_sub_f16_e32 v1, v1, v12
	v_add_f16_e32 v12, v4, v9
	v_add_f16_e32 v15, v2, v10
	v_sub_f16_e32 v4, v4, v9
	v_sub_f16_e32 v2, v2, v10
	v_add_f16_e32 v9, v5, v6
	v_add_f16_e32 v10, v3, v7
	v_sub_f16_e32 v5, v6, v5
	;; [unrolled: 4-line block ×3, first 2 shown]
	v_sub_f16_e32 v16, v12, v13
	v_sub_f16_e32 v17, v15, v14
	;; [unrolled: 1-line block ×6, first 2 shown]
	v_add_f16_e32 v18, v5, v4
	v_add_f16_e32 v19, v3, v2
	v_sub_f16_e32 v20, v5, v4
	v_sub_f16_e32 v21, v3, v2
	v_add_f16_e32 v6, v9, v6
	v_add_f16_e32 v7, v10, v7
	v_sub_f16_e32 v5, v11, v5
	v_sub_f16_e32 v3, v1, v3
	;; [unrolled: 1-line block ×4, first 2 shown]
	v_add_f16_e32 v9, v18, v11
	v_add_f16_e32 v1, v19, v1
	;; [unrolled: 1-line block ×3, first 2 shown]
	v_add_f16_sdwa v0, v0, v7 dst_sel:DWORD dst_unused:UNUSED_PAD src0_sel:WORD_1 src1_sel:DWORD
	v_mul_f16_e32 v11, 0x3a52, v13
	v_mul_f16_e32 v13, 0x3a52, v14
	;; [unrolled: 1-line block ×8, first 2 shown]
	v_fma_f16 v6, v6, s2, v10
	v_fma_f16 v7, v7, s2, v0
	;; [unrolled: 1-line block ×4, first 2 shown]
	v_fma_f16 v14, v16, s3, -v14
	v_fma_f16 v18, v17, s3, -v18
	;; [unrolled: 1-line block ×4, first 2 shown]
	v_fma_f16 v16, v5, s5, v19
	v_fma_f16 v17, v3, s5, v20
	v_fma_f16 v4, v4, s1, -v19
	v_fma_f16 v2, v2, s1, -v20
	;; [unrolled: 1-line block ×4, first 2 shown]
	v_add_f16_e32 v12, v12, v6
	v_add_f16_e32 v15, v15, v7
	;; [unrolled: 1-line block ×6, first 2 shown]
	v_fma_f16 v11, v9, s15, v16
	v_fma_f16 v13, v1, s15, v17
	;; [unrolled: 1-line block ×6, first 2 shown]
	v_add_f16_e32 v3, v13, v12
	v_sub_f16_e32 v9, v15, v11
	v_add_f16_e32 v16, v1, v6
	v_sub_f16_e32 v17, v7, v5
	v_sub_f16_e32 v19, v14, v2
	v_add_f16_e32 v20, v4, v18
	v_pack_b32_f16 v0, v10, v0
	v_pack_b32_f16 v3, v3, v9
	v_add_f16_e32 v2, v2, v14
	v_sub_f16_e32 v4, v18, v4
	v_sub_f16_e32 v1, v6, v1
	v_add_f16_e32 v5, v5, v7
	ds_write2_b32 v25, v0, v3 offset1:70
	v_pack_b32_f16 v0, v16, v17
	v_pack_b32_f16 v3, v19, v20
	v_sub_f16_e32 v6, v12, v13
	v_add_f16_e32 v11, v11, v15
	ds_write2_b32 v25, v0, v3 offset0:140 offset1:210
	v_pack_b32_f16 v0, v2, v4
	v_pack_b32_f16 v1, v1, v5
	v_add_u32_e32 v7, 0x400, v25
	ds_write2_b32 v7, v0, v1 offset0:24 offset1:94
	v_pack_b32_f16 v0, v6, v11
	ds_write_b32 v25, v0 offset:1680
	s_waitcnt lgkmcnt(0)
	s_barrier
	s_and_b64 exec, exec, vcc
	s_cbranch_execz .LBB0_15
; %bb.14:
	global_load_dword v10, v23, s[6:7]
	global_load_dword v9, v23, s[6:7] offset:196
	v_mad_u64_u32 v[2:3], s[0:1], s10, v8, 0
	v_mad_u64_u32 v[4:5], s[0:1], s8, v24, 0
	ds_read2_b32 v[0:1], v25 offset0:49 offset1:98
	global_load_dword v11, v23, s[6:7] offset:392
	global_load_dword v12, v23, s[6:7] offset:588
	;; [unrolled: 1-line block ×6, first 2 shown]
	ds_read_b32 v20, v25
	ds_read_b32 v14, v25 offset:1764
	v_mad_u64_u32 v[18:19], s[0:1], s11, v8, v[3:4]
	v_mov_b32_e32 v6, 0x7c00
	s_waitcnt lgkmcnt(1)
	v_lshrrev_b32_e32 v3, 16, v20
	v_mad_u64_u32 v[21:22], s[0:1], s9, v24, v[5:6]
	s_mov_b32 s14, 0xec259dc8
	s_mov_b32 s15, 0x3f60b7e6
	v_mov_b32_e32 v5, v21
	s_movk_i32 s18, 0x1ff
	s_movk_i32 s17, 0xffe
	;; [unrolled: 1-line block ×3, first 2 shown]
	s_mov_b32 s10, 0x8000
	s_waitcnt vmcnt(7)
	v_mul_f16_sdwa v8, v3, v10 dst_sel:DWORD dst_unused:UNUSED_PAD src0_sel:DWORD src1_sel:WORD_1
	v_fma_f16 v8, v20, v10, v8
	v_mul_f16_sdwa v19, v20, v10 dst_sel:DWORD dst_unused:UNUSED_PAD src0_sel:DWORD src1_sel:WORD_1
	v_cvt_f32_f16_e32 v8, v8
	v_fma_f16 v3, v10, v3, -v19
	v_cvt_f32_f16_e32 v3, v3
	v_cvt_f64_f32_e32 v[19:20], v8
	v_lshrrev_b32_e32 v8, 16, v0
	v_cvt_f64_f32_e32 v[26:27], v3
	v_mov_b32_e32 v3, v18
	v_mul_f64 v[19:20], v[19:20], s[14:15]
	s_waitcnt vmcnt(6)
	v_mul_f16_sdwa v10, v8, v9 dst_sel:DWORD dst_unused:UNUSED_PAD src0_sel:DWORD src1_sel:WORD_1
	v_mul_f64 v[21:22], v[26:27], s[14:15]
	v_fma_f16 v10, v0, v9, v10
	v_cvt_f32_f16_e32 v10, v10
	v_lshlrev_b64 v[2:3], 2, v[2:3]
	v_mul_f16_sdwa v0, v0, v9 dst_sel:DWORD dst_unused:UNUSED_PAD src0_sel:DWORD src1_sel:WORD_1
	v_fma_f16 v0, v9, v8, -v0
	v_and_or_b32 v18, v20, s18, v19
	v_cmp_ne_u32_e32 vcc, 0, v18
	v_and_or_b32 v21, v22, s18, v21
	v_lshrrev_b32_e32 v19, 8, v20
	v_bfe_u32 v24, v20, 20, 11
	v_cndmask_b32_e64 v18, 0, 1, vcc
	v_cmp_ne_u32_e32 vcc, 0, v21
	v_lshrrev_b32_e32 v26, 8, v22
	v_bfe_u32 v27, v22, 20, 11
	v_sub_u32_e32 v28, 0x3f1, v24
	v_cndmask_b32_e64 v21, 0, 1, vcc
	v_and_or_b32 v18, v19, s17, v18
	v_sub_u32_e32 v29, 0x3f1, v27
	v_med3_i32 v19, v28, 0, 13
	v_and_or_b32 v21, v26, s17, v21
	v_or_b32_e32 v28, 0x1000, v18
	v_add_u32_e32 v24, 0xfffffc10, v24
	v_med3_i32 v26, v29, 0, 13
	v_cmp_ne_u32_e32 vcc, 0, v18
	v_or_b32_e32 v30, 0x1000, v21
	v_lshrrev_b32_e32 v32, v19, v28
	v_add_u32_e32 v27, 0xfffffc10, v27
	v_lshl_or_b32 v29, v24, 12, v18
	v_cndmask_b32_e64 v18, 0, 1, vcc
	v_cmp_ne_u32_e32 vcc, 0, v21
	v_lshrrev_b32_e32 v33, v26, v30
	v_lshlrev_b32_e32 v19, v19, v32
	v_lshl_or_b32 v31, v27, 12, v21
	v_cndmask_b32_e64 v21, 0, 1, vcc
	v_lshlrev_b32_e32 v26, v26, v33
	v_cmp_ne_u32_e32 vcc, v19, v28
	v_cndmask_b32_e64 v19, 0, 1, vcc
	v_cmp_ne_u32_e32 vcc, v26, v30
	v_cndmask_b32_e64 v26, 0, 1, vcc
	v_or_b32_e32 v19, v32, v19
	v_cmp_gt_i32_e32 vcc, 1, v24
	v_cndmask_b32_e32 v19, v29, v19, vcc
	v_or_b32_e32 v26, v33, v26
	v_cmp_gt_i32_e32 vcc, 1, v27
	v_and_b32_e32 v28, 7, v19
	v_cndmask_b32_e32 v26, v31, v26, vcc
	v_cmp_lt_i32_e32 vcc, 5, v28
	v_cmp_eq_u32_e64 s[0:1], 3, v28
	v_lshrrev_b32_e32 v19, 2, v19
	v_and_b32_e32 v29, 7, v26
	s_or_b64 vcc, s[0:1], vcc
	v_cmp_lt_i32_e64 s[2:3], 5, v29
	v_cmp_eq_u32_e64 s[4:5], 3, v29
	v_addc_co_u32_e32 v19, vcc, 0, v19, vcc
	v_lshrrev_b32_e32 v26, 2, v26
	s_or_b64 vcc, s[4:5], s[2:3]
	v_addc_co_u32_e32 v26, vcc, 0, v26, vcc
	v_cmp_gt_i32_e32 vcc, 31, v24
	v_cndmask_b32_e32 v19, v6, v19, vcc
	v_cmp_gt_i32_e32 vcc, 31, v27
	v_lshl_or_b32 v18, v18, 9, v6
	v_cndmask_b32_e32 v26, v6, v26, vcc
	v_cmp_eq_u32_e32 vcc, s16, v24
	v_lshrrev_b32_e32 v20, 16, v20
	v_lshl_or_b32 v21, v21, 9, v6
	v_cndmask_b32_e32 v18, v19, v18, vcc
	v_cmp_eq_u32_e32 vcc, s16, v27
	v_lshrrev_b32_e32 v22, 16, v22
	v_cndmask_b32_e32 v19, v26, v21, vcc
	v_and_or_b32 v18, v20, s10, v18
	v_and_or_b32 v20, v22, s10, v19
	v_and_b32_e32 v21, 0xffff, v18
	v_cvt_f64_f32_e32 v[18:19], v10
	v_lshl_or_b32 v10, v20, 16, v21
	v_mov_b32_e32 v20, s13
	v_add_co_u32_e32 v21, vcc, s12, v2
	v_mul_f64 v[18:19], v[18:19], s[14:15]
	v_addc_co_u32_e32 v20, vcc, v20, v3, vcc
	v_lshlrev_b64 v[2:3], 2, v[4:5]
	v_cvt_f32_f16_e32 v0, v0
	v_add_co_u32_e32 v2, vcc, v21, v2
	v_addc_co_u32_e32 v3, vcc, v20, v3, vcc
	v_and_or_b32 v4, v19, s18, v18
	v_cmp_ne_u32_e32 vcc, 0, v4
	v_cndmask_b32_e64 v4, 0, 1, vcc
	v_lshrrev_b32_e32 v5, 8, v19
	global_store_dword v[2:3], v10, off
	v_and_or_b32 v10, v5, s17, v4
	v_bfe_u32 v5, v19, 20, 11
	v_sub_u32_e32 v18, 0x3f1, v5
	v_or_b32_e32 v4, 0x1000, v10
	v_med3_i32 v18, v18, 0, 13
	v_lshrrev_b32_e32 v20, v18, v4
	v_lshlrev_b32_e32 v18, v18, v20
	v_cmp_ne_u32_e32 vcc, v18, v4
	v_cndmask_b32_e64 v4, 0, 1, vcc
	v_add_u32_e32 v18, 0xfffffc10, v5
	v_or_b32_e32 v4, v20, v4
	v_lshl_or_b32 v5, v18, 12, v10
	v_cmp_gt_i32_e32 vcc, 1, v18
	v_cndmask_b32_e32 v4, v5, v4, vcc
	v_and_b32_e32 v5, 7, v4
	v_cmp_lt_i32_e32 vcc, 5, v5
	v_cmp_eq_u32_e64 s[0:1], 3, v5
	v_lshrrev_b32_e32 v8, 2, v4
	v_cvt_f64_f32_e32 v[4:5], v0
	s_or_b64 vcc, s[0:1], vcc
	v_addc_co_u32_e32 v0, vcc, 0, v8, vcc
	v_mul_f64 v[4:5], v[4:5], s[14:15]
	v_cmp_gt_i32_e32 vcc, 31, v18
	v_cndmask_b32_e32 v0, v6, v0, vcc
	v_cmp_ne_u32_e32 vcc, 0, v10
	v_cndmask_b32_e64 v8, 0, 1, vcc
	v_lshl_or_b32 v8, v8, 9, v6
	v_cmp_eq_u32_e32 vcc, s16, v18
	v_cndmask_b32_e32 v0, v0, v8, vcc
	v_and_or_b32 v4, v5, s18, v4
	v_lshrrev_b32_e32 v8, 16, v19
	v_cmp_ne_u32_e32 vcc, 0, v4
	v_and_or_b32 v0, v8, s10, v0
	v_cndmask_b32_e64 v4, 0, 1, vcc
	v_lshrrev_b32_e32 v8, 8, v5
	v_bfe_u32 v9, v5, 20, 11
	v_and_or_b32 v4, v8, s17, v4
	v_sub_u32_e32 v10, 0x3f1, v9
	v_or_b32_e32 v8, 0x1000, v4
	v_med3_i32 v10, v10, 0, 13
	v_lshrrev_b32_e32 v18, v10, v8
	v_lshlrev_b32_e32 v10, v10, v18
	v_cmp_ne_u32_e32 vcc, v10, v8
	v_cndmask_b32_e64 v8, 0, 1, vcc
	v_add_u32_e32 v9, 0xfffffc10, v9
	v_or_b32_e32 v8, v18, v8
	v_lshl_or_b32 v10, v9, 12, v4
	v_cmp_gt_i32_e32 vcc, 1, v9
	v_cndmask_b32_e32 v8, v10, v8, vcc
	v_and_b32_e32 v10, 7, v8
	v_cmp_lt_i32_e32 vcc, 5, v10
	v_cmp_eq_u32_e64 s[0:1], 3, v10
	v_lshrrev_b32_e32 v8, 2, v8
	s_or_b64 vcc, s[0:1], vcc
	v_addc_co_u32_e32 v8, vcc, 0, v8, vcc
	v_cmp_gt_i32_e32 vcc, 31, v9
	v_cndmask_b32_e32 v8, v6, v8, vcc
	v_cmp_ne_u32_e32 vcc, 0, v4
	v_cndmask_b32_e64 v4, 0, 1, vcc
	v_lshl_or_b32 v4, v4, 9, v6
	v_cmp_eq_u32_e32 vcc, s16, v9
	v_cndmask_b32_e32 v4, v8, v4, vcc
	v_lshrrev_b32_e32 v8, 16, v1
	s_waitcnt vmcnt(6)
	v_mul_f16_sdwa v9, v8, v11 dst_sel:DWORD dst_unused:UNUSED_PAD src0_sel:DWORD src1_sel:WORD_1
	v_fma_f16 v9, v1, v11, v9
	v_cvt_f32_f16_e32 v9, v9
	v_lshrrev_b32_e32 v5, 16, v5
	v_and_or_b32 v4, v5, s10, v4
	v_and_b32_e32 v0, 0xffff, v0
	v_lshl_or_b32 v0, v4, 16, v0
	v_cvt_f64_f32_e32 v[4:5], v9
	s_mul_i32 s0, s9, 0xc4
	s_mul_hi_u32 s2, s8, 0xc4
	s_add_i32 s2, s2, s0
	v_mul_f64 v[4:5], v[4:5], s[14:15]
	s_mul_i32 s3, s8, 0xc4
	v_mov_b32_e32 v9, s2
	v_add_co_u32_e32 v2, vcc, s3, v2
	v_addc_co_u32_e32 v3, vcc, v3, v9, vcc
	global_store_dword v[2:3], v0, off
	v_and_or_b32 v0, v5, s18, v4
	v_cmp_ne_u32_e32 vcc, 0, v0
	v_cndmask_b32_e64 v0, 0, 1, vcc
	v_lshrrev_b32_e32 v4, 8, v5
	v_bfe_u32 v9, v5, 20, 11
	v_and_or_b32 v4, v4, s17, v0
	v_sub_u32_e32 v10, 0x3f1, v9
	v_or_b32_e32 v0, 0x1000, v4
	v_med3_i32 v10, v10, 0, 13
	v_lshrrev_b32_e32 v18, v10, v0
	v_mul_f16_sdwa v1, v1, v11 dst_sel:DWORD dst_unused:UNUSED_PAD src0_sel:DWORD src1_sel:WORD_1
	v_lshlrev_b32_e32 v10, v10, v18
	v_fma_f16 v1, v11, v8, -v1
	v_cmp_ne_u32_e32 vcc, v10, v0
	v_cvt_f32_f16_e32 v1, v1
	v_cndmask_b32_e64 v0, 0, 1, vcc
	v_add_u32_e32 v9, 0xfffffc10, v9
	v_or_b32_e32 v0, v18, v0
	v_lshl_or_b32 v10, v9, 12, v4
	v_cmp_gt_i32_e32 vcc, 1, v9
	v_cndmask_b32_e32 v0, v10, v0, vcc
	v_and_b32_e32 v10, 7, v0
	v_lshrrev_b32_e32 v8, 2, v0
	v_cvt_f64_f32_e32 v[0:1], v1
	v_cmp_lt_i32_e32 vcc, 5, v10
	v_cmp_eq_u32_e64 s[0:1], 3, v10
	s_or_b64 vcc, s[0:1], vcc
	v_mul_f64 v[0:1], v[0:1], s[14:15]
	v_addc_co_u32_e32 v8, vcc, 0, v8, vcc
	v_cmp_gt_i32_e32 vcc, 31, v9
	v_cndmask_b32_e32 v8, v6, v8, vcc
	v_cmp_ne_u32_e32 vcc, 0, v4
	v_cndmask_b32_e64 v4, 0, 1, vcc
	v_lshl_or_b32 v4, v4, 9, v6
	v_cmp_eq_u32_e32 vcc, s16, v9
	v_and_or_b32 v0, v1, s18, v0
	v_cndmask_b32_e32 v4, v8, v4, vcc
	v_lshrrev_b32_e32 v5, 16, v5
	v_cmp_ne_u32_e32 vcc, 0, v0
	v_and_or_b32 v10, v5, s10, v4
	v_cndmask_b32_e64 v0, 0, 1, vcc
	v_lshrrev_b32_e32 v4, 8, v1
	v_bfe_u32 v5, v1, 20, 11
	v_and_or_b32 v0, v4, s17, v0
	v_sub_u32_e32 v8, 0x3f1, v5
	v_or_b32_e32 v4, 0x1000, v0
	v_med3_i32 v8, v8, 0, 13
	v_lshrrev_b32_e32 v9, v8, v4
	v_lshlrev_b32_e32 v8, v8, v9
	v_cmp_ne_u32_e32 vcc, v8, v4
	v_cndmask_b32_e64 v4, 0, 1, vcc
	v_add_u32_e32 v8, 0xfffffc10, v5
	v_or_b32_e32 v4, v9, v4
	v_lshl_or_b32 v5, v8, 12, v0
	v_cmp_gt_i32_e32 vcc, 1, v8
	v_cndmask_b32_e32 v4, v5, v4, vcc
	v_and_b32_e32 v5, 7, v4
	v_cmp_lt_i32_e32 vcc, 5, v5
	v_cmp_eq_u32_e64 s[0:1], 3, v5
	v_lshrrev_b32_e32 v4, 2, v4
	s_or_b64 vcc, s[0:1], vcc
	v_addc_co_u32_e32 v9, vcc, 0, v4, vcc
	ds_read2_b32 v[4:5], v25 offset0:147 offset1:196
	v_cmp_gt_i32_e32 vcc, 31, v8
	v_cndmask_b32_e32 v9, v6, v9, vcc
	v_cmp_ne_u32_e32 vcc, 0, v0
	v_cndmask_b32_e64 v0, 0, 1, vcc
	s_waitcnt lgkmcnt(0)
	v_lshrrev_b32_e32 v11, 16, v4
	s_waitcnt vmcnt(6)
	v_mul_f16_sdwa v18, v11, v12 dst_sel:DWORD dst_unused:UNUSED_PAD src0_sel:DWORD src1_sel:WORD_1
	v_fma_f16 v18, v4, v12, v18
	v_cvt_f32_f16_e32 v18, v18
	v_lshl_or_b32 v0, v0, 9, v6
	v_cmp_eq_u32_e32 vcc, s16, v8
	v_cndmask_b32_e32 v0, v9, v0, vcc
	v_cvt_f64_f32_e32 v[8:9], v18
	v_lshrrev_b32_e32 v1, 16, v1
	v_and_or_b32 v18, v1, s10, v0
	v_add_co_u32_e32 v2, vcc, s3, v2
	v_mul_f64 v[0:1], v[8:9], s[14:15]
	v_mov_b32_e32 v9, s2
	v_and_b32_e32 v10, 0xffff, v10
	v_addc_co_u32_e32 v3, vcc, v3, v9, vcc
	v_lshl_or_b32 v8, v18, 16, v10
	global_store_dword v[2:3], v8, off
	v_mul_f16_sdwa v4, v4, v12 dst_sel:DWORD dst_unused:UNUSED_PAD src0_sel:DWORD src1_sel:WORD_1
	v_and_or_b32 v0, v1, s18, v0
	v_cmp_ne_u32_e32 vcc, 0, v0
	v_cndmask_b32_e64 v0, 0, 1, vcc
	v_lshrrev_b32_e32 v8, 8, v1
	v_bfe_u32 v9, v1, 20, 11
	v_and_or_b32 v0, v8, s17, v0
	v_sub_u32_e32 v10, 0x3f1, v9
	v_or_b32_e32 v8, 0x1000, v0
	v_med3_i32 v10, v10, 0, 13
	v_lshrrev_b32_e32 v18, v10, v8
	v_lshlrev_b32_e32 v10, v10, v18
	v_cmp_ne_u32_e32 vcc, v10, v8
	v_fma_f16 v4, v12, v11, -v4
	v_cndmask_b32_e64 v8, 0, 1, vcc
	v_add_u32_e32 v10, 0xfffffc10, v9
	v_cvt_f32_f16_e32 v4, v4
	v_or_b32_e32 v8, v18, v8
	v_lshl_or_b32 v9, v10, 12, v0
	v_cmp_gt_i32_e32 vcc, 1, v10
	v_cndmask_b32_e32 v8, v9, v8, vcc
	v_and_b32_e32 v9, 7, v8
	v_cmp_lt_i32_e32 vcc, 5, v9
	v_cmp_eq_u32_e64 s[0:1], 3, v9
	v_lshrrev_b32_e32 v11, 2, v8
	v_cvt_f64_f32_e32 v[8:9], v4
	s_or_b64 vcc, s[0:1], vcc
	v_addc_co_u32_e32 v4, vcc, 0, v11, vcc
	v_mul_f64 v[8:9], v[8:9], s[14:15]
	v_cmp_gt_i32_e32 vcc, 31, v10
	v_cndmask_b32_e32 v4, v6, v4, vcc
	v_cmp_ne_u32_e32 vcc, 0, v0
	v_cndmask_b32_e64 v0, 0, 1, vcc
	v_lshl_or_b32 v0, v0, 9, v6
	v_cmp_eq_u32_e32 vcc, s16, v10
	v_cndmask_b32_e32 v0, v4, v0, vcc
	v_lshrrev_b32_e32 v1, 16, v1
	v_and_or_b32 v4, v1, s10, v0
	v_and_or_b32 v0, v9, s18, v8
	v_cmp_ne_u32_e32 vcc, 0, v0
	v_cndmask_b32_e64 v0, 0, 1, vcc
	v_lshrrev_b32_e32 v1, 8, v9
	v_bfe_u32 v8, v9, 20, 11
	v_and_or_b32 v0, v1, s17, v0
	v_sub_u32_e32 v10, 0x3f1, v8
	v_or_b32_e32 v1, 0x1000, v0
	v_med3_i32 v10, v10, 0, 13
	v_lshrrev_b32_e32 v11, v10, v1
	v_lshlrev_b32_e32 v10, v10, v11
	v_cmp_ne_u32_e32 vcc, v10, v1
	v_cndmask_b32_e64 v1, 0, 1, vcc
	v_add_u32_e32 v8, 0xfffffc10, v8
	v_or_b32_e32 v1, v11, v1
	v_lshl_or_b32 v10, v8, 12, v0
	v_cmp_gt_i32_e32 vcc, 1, v8
	v_cndmask_b32_e32 v1, v10, v1, vcc
	v_and_b32_e32 v10, 7, v1
	v_cmp_lt_i32_e32 vcc, 5, v10
	v_cmp_eq_u32_e64 s[0:1], 3, v10
	v_lshrrev_b32_e32 v10, 16, v5
	v_lshrrev_b32_e32 v1, 2, v1
	s_or_b64 vcc, s[0:1], vcc
	s_waitcnt vmcnt(6)
	v_mul_f16_sdwa v11, v10, v13 dst_sel:DWORD dst_unused:UNUSED_PAD src0_sel:DWORD src1_sel:WORD_1
	v_addc_co_u32_e32 v1, vcc, 0, v1, vcc
	v_fma_f16 v11, v5, v13, v11
	v_cmp_gt_i32_e32 vcc, 31, v8
	v_cvt_f32_f16_e32 v11, v11
	v_cndmask_b32_e32 v1, v6, v1, vcc
	v_cmp_ne_u32_e32 vcc, 0, v0
	v_cndmask_b32_e64 v0, 0, 1, vcc
	v_lshl_or_b32 v0, v0, 9, v6
	v_cmp_eq_u32_e32 vcc, s16, v8
	v_cndmask_b32_e32 v8, v1, v0, vcc
	v_cvt_f64_f32_e32 v[0:1], v11
	v_lshrrev_b32_e32 v9, 16, v9
	v_and_or_b32 v8, v9, s10, v8
	v_and_b32_e32 v4, 0xffff, v4
	v_mul_f64 v[0:1], v[0:1], s[14:15]
	v_lshl_or_b32 v4, v8, 16, v4
	v_mov_b32_e32 v8, s2
	v_add_co_u32_e32 v2, vcc, s3, v2
	v_addc_co_u32_e32 v3, vcc, v3, v8, vcc
	global_store_dword v[2:3], v4, off
	v_and_or_b32 v0, v1, s18, v0
	v_cmp_ne_u32_e32 vcc, 0, v0
	v_cndmask_b32_e64 v0, 0, 1, vcc
	v_lshrrev_b32_e32 v4, 8, v1
	v_bfe_u32 v8, v1, 20, 11
	v_and_or_b32 v0, v4, s17, v0
	v_sub_u32_e32 v9, 0x3f1, v8
	v_or_b32_e32 v4, 0x1000, v0
	v_med3_i32 v9, v9, 0, 13
	v_lshrrev_b32_e32 v11, v9, v4
	v_lshlrev_b32_e32 v9, v9, v11
	v_mul_f16_sdwa v5, v5, v13 dst_sel:DWORD dst_unused:UNUSED_PAD src0_sel:DWORD src1_sel:WORD_1
	v_cmp_ne_u32_e32 vcc, v9, v4
	v_fma_f16 v5, v13, v10, -v5
	v_cndmask_b32_e64 v4, 0, 1, vcc
	v_add_u32_e32 v8, 0xfffffc10, v8
	v_cvt_f32_f16_e32 v5, v5
	v_or_b32_e32 v4, v11, v4
	v_lshl_or_b32 v9, v8, 12, v0
	v_cmp_gt_i32_e32 vcc, 1, v8
	v_cndmask_b32_e32 v4, v9, v4, vcc
	v_and_b32_e32 v9, 7, v4
	v_cmp_lt_i32_e32 vcc, 5, v9
	v_cmp_eq_u32_e64 s[0:1], 3, v9
	v_lshrrev_b32_e32 v9, 2, v4
	v_cvt_f64_f32_e32 v[4:5], v5
	s_or_b64 vcc, s[0:1], vcc
	v_addc_co_u32_e32 v9, vcc, 0, v9, vcc
	v_mul_f64 v[4:5], v[4:5], s[14:15]
	v_cmp_gt_i32_e32 vcc, 31, v8
	v_cndmask_b32_e32 v9, v6, v9, vcc
	v_cmp_ne_u32_e32 vcc, 0, v0
	v_cndmask_b32_e64 v0, 0, 1, vcc
	v_lshl_or_b32 v0, v0, 9, v6
	v_cmp_eq_u32_e32 vcc, s16, v8
	v_cndmask_b32_e32 v0, v9, v0, vcc
	v_lshrrev_b32_e32 v1, 16, v1
	v_and_or_b32 v10, v1, s10, v0
	v_and_or_b32 v0, v5, s18, v4
	v_cmp_ne_u32_e32 vcc, 0, v0
	v_cndmask_b32_e64 v0, 0, 1, vcc
	v_lshrrev_b32_e32 v1, 8, v5
	v_and_or_b32 v4, v1, s17, v0
	v_bfe_u32 v1, v5, 20, 11
	v_sub_u32_e32 v8, 0x3f1, v1
	v_or_b32_e32 v0, 0x1000, v4
	v_med3_i32 v8, v8, 0, 13
	v_lshrrev_b32_e32 v9, v8, v0
	v_lshlrev_b32_e32 v8, v8, v9
	v_cmp_ne_u32_e32 vcc, v8, v0
	v_cndmask_b32_e64 v0, 0, 1, vcc
	v_add_u32_e32 v8, 0xfffffc10, v1
	v_or_b32_e32 v0, v9, v0
	v_lshl_or_b32 v1, v8, 12, v4
	v_cmp_gt_i32_e32 vcc, 1, v8
	v_cndmask_b32_e32 v0, v1, v0, vcc
	v_and_b32_e32 v1, 7, v0
	v_cmp_lt_i32_e32 vcc, 5, v1
	v_cmp_eq_u32_e64 s[0:1], 3, v1
	v_lshrrev_b32_e32 v0, 2, v0
	s_or_b64 vcc, s[0:1], vcc
	v_addc_co_u32_e32 v9, vcc, 0, v0, vcc
	v_add_u32_e32 v0, 0x200, v25
	ds_read2_b32 v[0:1], v0 offset0:117 offset1:166
	v_cmp_gt_i32_e32 vcc, 31, v8
	v_cndmask_b32_e32 v9, v6, v9, vcc
	v_cmp_ne_u32_e32 vcc, 0, v4
	v_cndmask_b32_e64 v4, 0, 1, vcc
	s_waitcnt lgkmcnt(0)
	v_lshrrev_b32_e32 v11, 16, v0
	s_waitcnt vmcnt(6)
	v_mul_f16_sdwa v12, v11, v15 dst_sel:DWORD dst_unused:UNUSED_PAD src0_sel:DWORD src1_sel:WORD_1
	v_fma_f16 v12, v0, v15, v12
	v_cvt_f32_f16_e32 v12, v12
	v_lshl_or_b32 v4, v4, 9, v6
	v_cmp_eq_u32_e32 vcc, s16, v8
	v_cndmask_b32_e32 v4, v9, v4, vcc
	v_cvt_f64_f32_e32 v[8:9], v12
	v_lshrrev_b32_e32 v5, 16, v5
	v_and_or_b32 v12, v5, s10, v4
	v_add_co_u32_e32 v2, vcc, s3, v2
	v_mul_f64 v[4:5], v[8:9], s[14:15]
	v_mov_b32_e32 v9, s2
	v_and_b32_e32 v10, 0xffff, v10
	v_addc_co_u32_e32 v3, vcc, v3, v9, vcc
	v_lshl_or_b32 v8, v12, 16, v10
	global_store_dword v[2:3], v8, off
	v_mul_f16_sdwa v0, v0, v15 dst_sel:DWORD dst_unused:UNUSED_PAD src0_sel:DWORD src1_sel:WORD_1
	v_and_or_b32 v4, v5, s18, v4
	v_cmp_ne_u32_e32 vcc, 0, v4
	v_cndmask_b32_e64 v4, 0, 1, vcc
	v_lshrrev_b32_e32 v8, 8, v5
	v_bfe_u32 v9, v5, 20, 11
	v_and_or_b32 v4, v8, s17, v4
	v_sub_u32_e32 v10, 0x3f1, v9
	v_or_b32_e32 v8, 0x1000, v4
	v_med3_i32 v10, v10, 0, 13
	v_lshrrev_b32_e32 v12, v10, v8
	v_lshlrev_b32_e32 v10, v10, v12
	v_cmp_ne_u32_e32 vcc, v10, v8
	v_fma_f16 v0, v15, v11, -v0
	v_cndmask_b32_e64 v8, 0, 1, vcc
	v_add_u32_e32 v10, 0xfffffc10, v9
	v_cvt_f32_f16_e32 v0, v0
	v_or_b32_e32 v8, v12, v8
	v_lshl_or_b32 v9, v10, 12, v4
	v_cmp_gt_i32_e32 vcc, 1, v10
	v_cndmask_b32_e32 v8, v9, v8, vcc
	v_and_b32_e32 v9, 7, v8
	v_cmp_lt_i32_e32 vcc, 5, v9
	v_cmp_eq_u32_e64 s[0:1], 3, v9
	v_lshrrev_b32_e32 v11, 2, v8
	v_cvt_f64_f32_e32 v[8:9], v0
	s_or_b64 vcc, s[0:1], vcc
	v_addc_co_u32_e32 v0, vcc, 0, v11, vcc
	v_mul_f64 v[8:9], v[8:9], s[14:15]
	v_cmp_gt_i32_e32 vcc, 31, v10
	v_cndmask_b32_e32 v0, v6, v0, vcc
	v_cmp_ne_u32_e32 vcc, 0, v4
	v_cndmask_b32_e64 v4, 0, 1, vcc
	v_lshl_or_b32 v4, v4, 9, v6
	v_cmp_eq_u32_e32 vcc, s16, v10
	v_cndmask_b32_e32 v0, v0, v4, vcc
	v_lshrrev_b32_e32 v4, 16, v5
	v_and_or_b32 v0, v4, s10, v0
	v_and_or_b32 v4, v9, s18, v8
	v_cmp_ne_u32_e32 vcc, 0, v4
	v_cndmask_b32_e64 v4, 0, 1, vcc
	v_lshrrev_b32_e32 v5, 8, v9
	v_bfe_u32 v8, v9, 20, 11
	v_and_or_b32 v4, v5, s17, v4
	v_sub_u32_e32 v10, 0x3f1, v8
	v_or_b32_e32 v5, 0x1000, v4
	v_med3_i32 v10, v10, 0, 13
	v_lshrrev_b32_e32 v11, v10, v5
	v_lshlrev_b32_e32 v10, v10, v11
	v_cmp_ne_u32_e32 vcc, v10, v5
	v_cndmask_b32_e64 v5, 0, 1, vcc
	v_add_u32_e32 v8, 0xfffffc10, v8
	v_or_b32_e32 v5, v11, v5
	v_lshl_or_b32 v10, v8, 12, v4
	v_cmp_gt_i32_e32 vcc, 1, v8
	v_cndmask_b32_e32 v5, v10, v5, vcc
	v_and_b32_e32 v10, 7, v5
	v_cmp_lt_i32_e32 vcc, 5, v10
	v_cmp_eq_u32_e64 s[0:1], 3, v10
	v_lshrrev_b32_e32 v10, 16, v1
	v_lshrrev_b32_e32 v5, 2, v5
	s_or_b64 vcc, s[0:1], vcc
	s_waitcnt vmcnt(6)
	v_mul_f16_sdwa v11, v10, v16 dst_sel:DWORD dst_unused:UNUSED_PAD src0_sel:DWORD src1_sel:WORD_1
	v_addc_co_u32_e32 v5, vcc, 0, v5, vcc
	v_fma_f16 v11, v1, v16, v11
	v_cmp_gt_i32_e32 vcc, 31, v8
	v_cvt_f32_f16_e32 v11, v11
	v_cndmask_b32_e32 v5, v6, v5, vcc
	v_cmp_ne_u32_e32 vcc, 0, v4
	v_cndmask_b32_e64 v4, 0, 1, vcc
	v_lshl_or_b32 v4, v4, 9, v6
	v_cmp_eq_u32_e32 vcc, s16, v8
	v_cndmask_b32_e32 v8, v5, v4, vcc
	v_cvt_f64_f32_e32 v[4:5], v11
	v_lshrrev_b32_e32 v9, 16, v9
	v_and_or_b32 v8, v9, s10, v8
	v_and_b32_e32 v0, 0xffff, v0
	v_mul_f64 v[4:5], v[4:5], s[14:15]
	v_lshl_or_b32 v0, v8, 16, v0
	v_mov_b32_e32 v8, s2
	v_add_co_u32_e32 v2, vcc, s3, v2
	v_addc_co_u32_e32 v3, vcc, v3, v8, vcc
	global_store_dword v[2:3], v0, off
	v_and_or_b32 v0, v5, s18, v4
	v_cmp_ne_u32_e32 vcc, 0, v0
	v_cndmask_b32_e64 v0, 0, 1, vcc
	v_lshrrev_b32_e32 v4, 8, v5
	v_bfe_u32 v8, v5, 20, 11
	v_and_or_b32 v4, v4, s17, v0
	v_sub_u32_e32 v9, 0x3f1, v8
	v_or_b32_e32 v0, 0x1000, v4
	v_med3_i32 v9, v9, 0, 13
	v_lshrrev_b32_e32 v11, v9, v0
	v_lshlrev_b32_e32 v9, v9, v11
	v_mul_f16_sdwa v1, v1, v16 dst_sel:DWORD dst_unused:UNUSED_PAD src0_sel:DWORD src1_sel:WORD_1
	v_cmp_ne_u32_e32 vcc, v9, v0
	v_fma_f16 v1, v16, v10, -v1
	v_cndmask_b32_e64 v0, 0, 1, vcc
	v_add_u32_e32 v8, 0xfffffc10, v8
	v_cvt_f32_f16_e32 v1, v1
	v_or_b32_e32 v0, v11, v0
	v_lshl_or_b32 v9, v8, 12, v4
	v_cmp_gt_i32_e32 vcc, 1, v8
	v_cndmask_b32_e32 v0, v9, v0, vcc
	v_and_b32_e32 v9, 7, v0
	v_cmp_lt_i32_e32 vcc, 5, v9
	v_cmp_eq_u32_e64 s[0:1], 3, v9
	v_lshrrev_b32_e32 v9, 2, v0
	v_cvt_f64_f32_e32 v[0:1], v1
	s_or_b64 vcc, s[0:1], vcc
	v_addc_co_u32_e32 v9, vcc, 0, v9, vcc
	v_mul_f64 v[0:1], v[0:1], s[14:15]
	v_cmp_gt_i32_e32 vcc, 31, v8
	v_cndmask_b32_e32 v9, v6, v9, vcc
	v_cmp_ne_u32_e32 vcc, 0, v4
	v_cndmask_b32_e64 v4, 0, 1, vcc
	v_lshl_or_b32 v4, v4, 9, v6
	v_cmp_eq_u32_e32 vcc, s16, v8
	v_cndmask_b32_e32 v4, v9, v4, vcc
	v_and_or_b32 v0, v1, s18, v0
	v_lshrrev_b32_e32 v5, 16, v5
	v_cmp_ne_u32_e32 vcc, 0, v0
	v_and_or_b32 v8, v5, s10, v4
	v_cndmask_b32_e64 v0, 0, 1, vcc
	v_lshrrev_b32_e32 v4, 8, v1
	v_bfe_u32 v5, v1, 20, 11
	v_and_or_b32 v0, v4, s17, v0
	v_sub_u32_e32 v9, 0x3f1, v5
	v_or_b32_e32 v4, 0x1000, v0
	v_med3_i32 v9, v9, 0, 13
	v_lshrrev_b32_e32 v10, v9, v4
	v_lshlrev_b32_e32 v9, v9, v10
	v_cmp_ne_u32_e32 vcc, v9, v4
	v_cndmask_b32_e64 v4, 0, 1, vcc
	v_add_u32_e32 v9, 0xfffffc10, v5
	v_or_b32_e32 v4, v10, v4
	v_lshl_or_b32 v5, v9, 12, v0
	v_cmp_gt_i32_e32 vcc, 1, v9
	v_cndmask_b32_e32 v4, v5, v4, vcc
	v_and_b32_e32 v5, 7, v4
	v_cmp_lt_i32_e32 vcc, 5, v5
	v_cmp_eq_u32_e64 s[0:1], 3, v5
	v_lshrrev_b32_e32 v4, 2, v4
	s_or_b64 vcc, s[0:1], vcc
	v_addc_co_u32_e32 v10, vcc, 0, v4, vcc
	v_cmp_gt_i32_e32 vcc, 31, v9
	ds_read2_b32 v[4:5], v7 offset0:87 offset1:136
	v_cndmask_b32_e32 v7, v6, v10, vcc
	v_cmp_ne_u32_e32 vcc, 0, v0
	v_cndmask_b32_e64 v0, 0, 1, vcc
	v_lshl_or_b32 v0, v0, 9, v6
	v_cmp_eq_u32_e32 vcc, s16, v9
	v_cndmask_b32_e32 v7, v7, v0, vcc
	v_lshrrev_b32_e32 v9, 16, v1
	v_and_or_b32 v7, v9, s10, v7
	global_load_dword v9, v23, s[6:7] offset:1568
	s_waitcnt lgkmcnt(0)
	v_lshrrev_b32_e32 v10, 16, v4
	s_waitcnt vmcnt(7)
	v_mul_f16_sdwa v11, v10, v17 dst_sel:DWORD dst_unused:UNUSED_PAD src0_sel:DWORD src1_sel:WORD_1
	v_fma_f16 v11, v4, v17, v11
	v_cvt_f32_f16_e32 v11, v11
	v_and_b32_e32 v8, 0xffff, v8
	v_lshl_or_b32 v7, v7, 16, v8
	v_mov_b32_e32 v8, s2
	v_cvt_f64_f32_e32 v[0:1], v11
	v_add_co_u32_e32 v2, vcc, s3, v2
	v_addc_co_u32_e32 v3, vcc, v3, v8, vcc
	v_mul_f64 v[0:1], v[0:1], s[14:15]
	global_store_dword v[2:3], v7, off
	v_mul_f16_sdwa v4, v4, v17 dst_sel:DWORD dst_unused:UNUSED_PAD src0_sel:DWORD src1_sel:WORD_1
	v_fma_f16 v4, v17, v10, -v4
	v_cvt_f32_f16_e32 v4, v4
	v_and_or_b32 v0, v1, s18, v0
	v_cmp_ne_u32_e32 vcc, 0, v0
	v_cndmask_b32_e64 v0, 0, 1, vcc
	v_lshrrev_b32_e32 v7, 8, v1
	v_bfe_u32 v8, v1, 20, 11
	v_and_or_b32 v0, v7, s17, v0
	v_sub_u32_e32 v11, 0x3f1, v8
	v_or_b32_e32 v7, 0x1000, v0
	v_med3_i32 v11, v11, 0, 13
	v_lshrrev_b32_e32 v12, v11, v7
	v_lshlrev_b32_e32 v11, v11, v12
	v_cmp_ne_u32_e32 vcc, v11, v7
	v_cndmask_b32_e64 v7, 0, 1, vcc
	v_add_u32_e32 v11, 0xfffffc10, v8
	v_or_b32_e32 v7, v12, v7
	v_lshl_or_b32 v8, v11, 12, v0
	v_cmp_gt_i32_e32 vcc, 1, v11
	v_cndmask_b32_e32 v7, v8, v7, vcc
	v_and_b32_e32 v8, 7, v7
	v_cmp_lt_i32_e32 vcc, 5, v8
	v_cmp_eq_u32_e64 s[0:1], 3, v8
	v_lshrrev_b32_e32 v10, 2, v7
	v_cvt_f64_f32_e32 v[7:8], v4
	s_or_b64 vcc, s[0:1], vcc
	v_addc_co_u32_e32 v4, vcc, 0, v10, vcc
	v_mul_f64 v[7:8], v[7:8], s[14:15]
	v_cmp_gt_i32_e32 vcc, 31, v11
	v_cndmask_b32_e32 v4, v6, v4, vcc
	v_cmp_ne_u32_e32 vcc, 0, v0
	v_cndmask_b32_e64 v0, 0, 1, vcc
	v_lshl_or_b32 v0, v0, 9, v6
	v_cmp_eq_u32_e32 vcc, s16, v11
	v_cndmask_b32_e32 v0, v4, v0, vcc
	v_lshrrev_b32_e32 v1, 16, v1
	v_and_or_b32 v4, v1, s10, v0
	v_and_or_b32 v0, v8, s18, v7
	v_cmp_ne_u32_e32 vcc, 0, v0
	v_cndmask_b32_e64 v0, 0, 1, vcc
	v_lshrrev_b32_e32 v1, 8, v8
	v_bfe_u32 v7, v8, 20, 11
	v_and_or_b32 v0, v1, s17, v0
	v_sub_u32_e32 v10, 0x3f1, v7
	v_or_b32_e32 v1, 0x1000, v0
	v_med3_i32 v10, v10, 0, 13
	v_lshrrev_b32_e32 v11, v10, v1
	v_lshlrev_b32_e32 v10, v10, v11
	v_cmp_ne_u32_e32 vcc, v10, v1
	v_cndmask_b32_e64 v1, 0, 1, vcc
	v_or_b32_e32 v1, v11, v1
	global_load_dword v11, v23, s[6:7] offset:1764
	v_add_u32_e32 v7, 0xfffffc10, v7
	v_lshl_or_b32 v10, v7, 12, v0
	v_cmp_gt_i32_e32 vcc, 1, v7
	v_cndmask_b32_e32 v1, v10, v1, vcc
	v_and_b32_e32 v10, 7, v1
	v_cmp_lt_i32_e32 vcc, 5, v10
	v_cmp_eq_u32_e64 s[0:1], 3, v10
	v_lshrrev_b32_e32 v10, 16, v5
	v_lshrrev_b32_e32 v1, 2, v1
	s_or_b64 vcc, s[0:1], vcc
	s_waitcnt vmcnt(2)
	v_mul_f16_sdwa v12, v10, v9 dst_sel:DWORD dst_unused:UNUSED_PAD src0_sel:DWORD src1_sel:WORD_1
	v_addc_co_u32_e32 v1, vcc, 0, v1, vcc
	v_fma_f16 v12, v5, v9, v12
	v_cmp_gt_i32_e32 vcc, 31, v7
	v_cvt_f32_f16_e32 v12, v12
	v_cndmask_b32_e32 v1, v6, v1, vcc
	v_cmp_ne_u32_e32 vcc, 0, v0
	v_cndmask_b32_e64 v0, 0, 1, vcc
	v_lshl_or_b32 v0, v0, 9, v6
	v_cmp_eq_u32_e32 vcc, s16, v7
	v_cndmask_b32_e32 v7, v1, v0, vcc
	v_cvt_f64_f32_e32 v[0:1], v12
	v_lshrrev_b32_e32 v8, 16, v8
	v_and_or_b32 v7, v8, s10, v7
	v_and_b32_e32 v4, 0xffff, v4
	v_mul_f64 v[0:1], v[0:1], s[14:15]
	v_lshl_or_b32 v4, v7, 16, v4
	v_mov_b32_e32 v7, s2
	v_add_co_u32_e32 v2, vcc, s3, v2
	v_addc_co_u32_e32 v3, vcc, v3, v7, vcc
	global_store_dword v[2:3], v4, off
	v_and_or_b32 v0, v1, s18, v0
	v_cmp_ne_u32_e32 vcc, 0, v0
	v_cndmask_b32_e64 v0, 0, 1, vcc
	v_lshrrev_b32_e32 v4, 8, v1
	v_bfe_u32 v7, v1, 20, 11
	v_and_or_b32 v0, v4, s17, v0
	v_sub_u32_e32 v8, 0x3f1, v7
	v_or_b32_e32 v4, 0x1000, v0
	v_med3_i32 v8, v8, 0, 13
	v_lshrrev_b32_e32 v12, v8, v4
	v_lshlrev_b32_e32 v8, v8, v12
	v_mul_f16_sdwa v5, v5, v9 dst_sel:DWORD dst_unused:UNUSED_PAD src0_sel:DWORD src1_sel:WORD_1
	v_cmp_ne_u32_e32 vcc, v8, v4
	v_fma_f16 v5, v9, v10, -v5
	v_cndmask_b32_e64 v4, 0, 1, vcc
	v_add_u32_e32 v7, 0xfffffc10, v7
	v_cvt_f32_f16_e32 v5, v5
	v_or_b32_e32 v4, v12, v4
	v_lshl_or_b32 v8, v7, 12, v0
	v_cmp_gt_i32_e32 vcc, 1, v7
	v_cndmask_b32_e32 v4, v8, v4, vcc
	v_and_b32_e32 v8, 7, v4
	v_cmp_lt_i32_e32 vcc, 5, v8
	v_cmp_eq_u32_e64 s[0:1], 3, v8
	v_lshrrev_b32_e32 v8, 2, v4
	v_cvt_f64_f32_e32 v[4:5], v5
	s_or_b64 vcc, s[0:1], vcc
	v_addc_co_u32_e32 v8, vcc, 0, v8, vcc
	v_mul_f64 v[4:5], v[4:5], s[14:15]
	v_cmp_gt_i32_e32 vcc, 31, v7
	v_cndmask_b32_e32 v8, v6, v8, vcc
	v_cmp_ne_u32_e32 vcc, 0, v0
	v_cndmask_b32_e64 v0, 0, 1, vcc
	v_lshl_or_b32 v0, v0, 9, v6
	v_cmp_eq_u32_e32 vcc, s16, v7
	v_cndmask_b32_e32 v0, v8, v0, vcc
	v_lshrrev_b32_e32 v1, 16, v1
	v_and_or_b32 v7, v1, s10, v0
	v_and_or_b32 v0, v5, s18, v4
	v_cmp_ne_u32_e32 vcc, 0, v0
	v_cndmask_b32_e64 v0, 0, 1, vcc
	v_lshrrev_b32_e32 v1, 8, v5
	v_bfe_u32 v4, v5, 20, 11
	v_and_or_b32 v0, v1, s17, v0
	v_sub_u32_e32 v8, 0x3f1, v4
	v_or_b32_e32 v1, 0x1000, v0
	v_med3_i32 v8, v8, 0, 13
	v_lshrrev_b32_e32 v9, v8, v1
	v_lshlrev_b32_e32 v8, v8, v9
	v_cmp_ne_u32_e32 vcc, v8, v1
	v_cndmask_b32_e64 v1, 0, 1, vcc
	v_add_u32_e32 v4, 0xfffffc10, v4
	v_or_b32_e32 v1, v9, v1
	v_lshl_or_b32 v8, v4, 12, v0
	v_cmp_gt_i32_e32 vcc, 1, v4
	v_cndmask_b32_e32 v1, v8, v1, vcc
	v_and_b32_e32 v8, 7, v1
	v_cmp_lt_i32_e32 vcc, 5, v8
	v_cmp_eq_u32_e64 s[0:1], 3, v8
	v_lshrrev_b32_e32 v8, 16, v14
	v_lshrrev_b32_e32 v1, 2, v1
	s_or_b64 vcc, s[0:1], vcc
	s_waitcnt vmcnt(1)
	v_mul_f16_sdwa v9, v8, v11 dst_sel:DWORD dst_unused:UNUSED_PAD src0_sel:DWORD src1_sel:WORD_1
	v_addc_co_u32_e32 v1, vcc, 0, v1, vcc
	v_fma_f16 v9, v14, v11, v9
	v_cmp_gt_i32_e32 vcc, 31, v4
	v_cvt_f32_f16_e32 v9, v9
	v_cndmask_b32_e32 v1, v6, v1, vcc
	v_cmp_ne_u32_e32 vcc, 0, v0
	v_cndmask_b32_e64 v0, 0, 1, vcc
	v_lshl_or_b32 v0, v0, 9, v6
	v_cmp_eq_u32_e32 vcc, s16, v4
	v_cndmask_b32_e32 v4, v1, v0, vcc
	v_cvt_f64_f32_e32 v[0:1], v9
	v_lshrrev_b32_e32 v5, 16, v5
	v_and_or_b32 v4, v5, s10, v4
	v_and_b32_e32 v5, 0xffff, v7
	v_mul_f64 v[0:1], v[0:1], s[14:15]
	v_lshl_or_b32 v4, v4, 16, v5
	v_mov_b32_e32 v5, s2
	v_add_co_u32_e32 v2, vcc, s3, v2
	v_addc_co_u32_e32 v3, vcc, v3, v5, vcc
	global_store_dword v[2:3], v4, off
	v_and_or_b32 v0, v1, s18, v0
	v_cmp_ne_u32_e32 vcc, 0, v0
	v_cndmask_b32_e64 v0, 0, 1, vcc
	v_lshrrev_b32_e32 v4, 8, v1
	v_bfe_u32 v5, v1, 20, 11
	v_and_or_b32 v0, v4, s17, v0
	v_sub_u32_e32 v7, 0x3f1, v5
	v_or_b32_e32 v4, 0x1000, v0
	v_med3_i32 v7, v7, 0, 13
	v_lshrrev_b32_e32 v9, v7, v4
	v_lshlrev_b32_e32 v7, v7, v9
	v_cmp_ne_u32_e32 vcc, v7, v4
	v_cndmask_b32_e64 v4, 0, 1, vcc
	v_or_b32_e32 v4, v9, v4
	v_mul_f16_sdwa v9, v14, v11 dst_sel:DWORD dst_unused:UNUSED_PAD src0_sel:DWORD src1_sel:WORD_1
	v_fma_f16 v8, v11, v8, -v9
	v_add_u32_e32 v7, 0xfffffc10, v5
	v_cvt_f32_f16_e32 v8, v8
	v_lshl_or_b32 v5, v7, 12, v0
	v_cmp_gt_i32_e32 vcc, 1, v7
	v_cndmask_b32_e32 v4, v5, v4, vcc
	v_and_b32_e32 v5, 7, v4
	v_cmp_lt_i32_e32 vcc, 5, v5
	v_cmp_eq_u32_e64 s[0:1], 3, v5
	v_lshrrev_b32_e32 v9, 2, v4
	v_cvt_f64_f32_e32 v[4:5], v8
	s_or_b64 vcc, s[0:1], vcc
	v_addc_co_u32_e32 v8, vcc, 0, v9, vcc
	v_mul_f64 v[4:5], v[4:5], s[14:15]
	v_cmp_gt_i32_e32 vcc, 31, v7
	v_cndmask_b32_e32 v8, v6, v8, vcc
	v_cmp_ne_u32_e32 vcc, 0, v0
	v_cndmask_b32_e64 v0, 0, 1, vcc
	v_lshl_or_b32 v0, v0, 9, v6
	v_cmp_eq_u32_e32 vcc, s16, v7
	v_cndmask_b32_e32 v0, v8, v0, vcc
	v_lshrrev_b32_e32 v1, 16, v1
	v_and_or_b32 v0, v1, s10, v0
	v_and_or_b32 v1, v5, s18, v4
	v_cmp_ne_u32_e32 vcc, 0, v1
	v_cndmask_b32_e64 v1, 0, 1, vcc
	v_lshrrev_b32_e32 v4, 8, v5
	v_bfe_u32 v7, v5, 20, 11
	v_and_or_b32 v1, v4, s17, v1
	v_sub_u32_e32 v8, 0x3f1, v7
	v_or_b32_e32 v4, 0x1000, v1
	v_med3_i32 v8, v8, 0, 13
	v_lshrrev_b32_e32 v9, v8, v4
	v_lshlrev_b32_e32 v8, v8, v9
	v_cmp_ne_u32_e32 vcc, v8, v4
	v_cndmask_b32_e64 v4, 0, 1, vcc
	v_add_u32_e32 v7, 0xfffffc10, v7
	v_or_b32_e32 v4, v9, v4
	v_lshl_or_b32 v8, v7, 12, v1
	v_cmp_gt_i32_e32 vcc, 1, v7
	v_cndmask_b32_e32 v4, v8, v4, vcc
	v_and_b32_e32 v8, 7, v4
	v_cmp_lt_i32_e32 vcc, 5, v8
	v_cmp_eq_u32_e64 s[0:1], 3, v8
	v_lshrrev_b32_e32 v4, 2, v4
	s_or_b64 vcc, s[0:1], vcc
	v_addc_co_u32_e32 v4, vcc, 0, v4, vcc
	v_cmp_gt_i32_e32 vcc, 31, v7
	v_cndmask_b32_e32 v4, v6, v4, vcc
	v_cmp_ne_u32_e32 vcc, 0, v1
	v_cndmask_b32_e64 v1, 0, 1, vcc
	v_lshl_or_b32 v1, v1, 9, v6
	v_cmp_eq_u32_e32 vcc, s16, v7
	v_cndmask_b32_e32 v1, v4, v1, vcc
	v_lshrrev_b32_e32 v4, 16, v5
	v_and_or_b32 v1, v4, s10, v1
	v_and_b32_e32 v0, 0xffff, v0
	v_lshl_or_b32 v4, v1, 16, v0
	v_mov_b32_e32 v1, s2
	v_add_co_u32_e32 v0, vcc, s3, v2
	v_addc_co_u32_e32 v1, vcc, v3, v1, vcc
	global_store_dword v[0:1], v4, off
.LBB0_15:
	s_endpgm
	.section	.rodata,"a",@progbits
	.p2align	6, 0x0
	.amdhsa_kernel bluestein_single_fwd_len490_dim1_half_op_CI_CI
		.amdhsa_group_segment_fixed_size 5880
		.amdhsa_private_segment_fixed_size 0
		.amdhsa_kernarg_size 104
		.amdhsa_user_sgpr_count 6
		.amdhsa_user_sgpr_private_segment_buffer 1
		.amdhsa_user_sgpr_dispatch_ptr 0
		.amdhsa_user_sgpr_queue_ptr 0
		.amdhsa_user_sgpr_kernarg_segment_ptr 1
		.amdhsa_user_sgpr_dispatch_id 0
		.amdhsa_user_sgpr_flat_scratch_init 0
		.amdhsa_user_sgpr_private_segment_size 0
		.amdhsa_uses_dynamic_stack 0
		.amdhsa_system_sgpr_private_segment_wavefront_offset 0
		.amdhsa_system_sgpr_workgroup_id_x 1
		.amdhsa_system_sgpr_workgroup_id_y 0
		.amdhsa_system_sgpr_workgroup_id_z 0
		.amdhsa_system_sgpr_workgroup_info 0
		.amdhsa_system_vgpr_workitem_id 0
		.amdhsa_next_free_vgpr 68
		.amdhsa_next_free_sgpr 20
		.amdhsa_reserve_vcc 1
		.amdhsa_reserve_flat_scratch 0
		.amdhsa_float_round_mode_32 0
		.amdhsa_float_round_mode_16_64 0
		.amdhsa_float_denorm_mode_32 3
		.amdhsa_float_denorm_mode_16_64 3
		.amdhsa_dx10_clamp 1
		.amdhsa_ieee_mode 1
		.amdhsa_fp16_overflow 0
		.amdhsa_exception_fp_ieee_invalid_op 0
		.amdhsa_exception_fp_denorm_src 0
		.amdhsa_exception_fp_ieee_div_zero 0
		.amdhsa_exception_fp_ieee_overflow 0
		.amdhsa_exception_fp_ieee_underflow 0
		.amdhsa_exception_fp_ieee_inexact 0
		.amdhsa_exception_int_div_zero 0
	.end_amdhsa_kernel
	.text
.Lfunc_end0:
	.size	bluestein_single_fwd_len490_dim1_half_op_CI_CI, .Lfunc_end0-bluestein_single_fwd_len490_dim1_half_op_CI_CI
                                        ; -- End function
	.section	.AMDGPU.csdata,"",@progbits
; Kernel info:
; codeLenInByte = 12960
; NumSgprs: 24
; NumVgprs: 68
; ScratchSize: 0
; MemoryBound: 0
; FloatMode: 240
; IeeeMode: 1
; LDSByteSize: 5880 bytes/workgroup (compile time only)
; SGPRBlocks: 2
; VGPRBlocks: 16
; NumSGPRsForWavesPerEU: 24
; NumVGPRsForWavesPerEU: 68
; Occupancy: 3
; WaveLimiterHint : 1
; COMPUTE_PGM_RSRC2:SCRATCH_EN: 0
; COMPUTE_PGM_RSRC2:USER_SGPR: 6
; COMPUTE_PGM_RSRC2:TRAP_HANDLER: 0
; COMPUTE_PGM_RSRC2:TGID_X_EN: 1
; COMPUTE_PGM_RSRC2:TGID_Y_EN: 0
; COMPUTE_PGM_RSRC2:TGID_Z_EN: 0
; COMPUTE_PGM_RSRC2:TIDIG_COMP_CNT: 0
	.type	__hip_cuid_9b2d1a5c7c943b00,@object ; @__hip_cuid_9b2d1a5c7c943b00
	.section	.bss,"aw",@nobits
	.globl	__hip_cuid_9b2d1a5c7c943b00
__hip_cuid_9b2d1a5c7c943b00:
	.byte	0                               ; 0x0
	.size	__hip_cuid_9b2d1a5c7c943b00, 1

	.ident	"AMD clang version 19.0.0git (https://github.com/RadeonOpenCompute/llvm-project roc-6.4.0 25133 c7fe45cf4b819c5991fe208aaa96edf142730f1d)"
	.section	".note.GNU-stack","",@progbits
	.addrsig
	.addrsig_sym __hip_cuid_9b2d1a5c7c943b00
	.amdgpu_metadata
---
amdhsa.kernels:
  - .args:
      - .actual_access:  read_only
        .address_space:  global
        .offset:         0
        .size:           8
        .value_kind:     global_buffer
      - .actual_access:  read_only
        .address_space:  global
        .offset:         8
        .size:           8
        .value_kind:     global_buffer
      - .actual_access:  read_only
        .address_space:  global
        .offset:         16
        .size:           8
        .value_kind:     global_buffer
      - .actual_access:  read_only
        .address_space:  global
        .offset:         24
        .size:           8
        .value_kind:     global_buffer
      - .actual_access:  read_only
        .address_space:  global
        .offset:         32
        .size:           8
        .value_kind:     global_buffer
      - .offset:         40
        .size:           8
        .value_kind:     by_value
      - .address_space:  global
        .offset:         48
        .size:           8
        .value_kind:     global_buffer
      - .address_space:  global
        .offset:         56
        .size:           8
        .value_kind:     global_buffer
      - .address_space:  global
        .offset:         64
        .size:           8
        .value_kind:     global_buffer
      - .address_space:  global
        .offset:         72
        .size:           8
        .value_kind:     global_buffer
      - .offset:         80
        .size:           4
        .value_kind:     by_value
      - .address_space:  global
        .offset:         88
        .size:           8
        .value_kind:     global_buffer
      - .address_space:  global
        .offset:         96
        .size:           8
        .value_kind:     global_buffer
    .group_segment_fixed_size: 5880
    .kernarg_segment_align: 8
    .kernarg_segment_size: 104
    .language:       OpenCL C
    .language_version:
      - 2
      - 0
    .max_flat_workgroup_size: 210
    .name:           bluestein_single_fwd_len490_dim1_half_op_CI_CI
    .private_segment_fixed_size: 0
    .sgpr_count:     24
    .sgpr_spill_count: 0
    .symbol:         bluestein_single_fwd_len490_dim1_half_op_CI_CI.kd
    .uniform_work_group_size: 1
    .uses_dynamic_stack: false
    .vgpr_count:     68
    .vgpr_spill_count: 0
    .wavefront_size: 64
amdhsa.target:   amdgcn-amd-amdhsa--gfx906
amdhsa.version:
  - 1
  - 2
...

	.end_amdgpu_metadata
